;; amdgpu-corpus repo=ROCm/rocFFT kind=compiled arch=gfx1030 opt=O3
	.text
	.amdgcn_target "amdgcn-amd-amdhsa--gfx1030"
	.amdhsa_code_object_version 6
	.protected	bluestein_single_back_len17_dim1_dp_op_CI_CI ; -- Begin function bluestein_single_back_len17_dim1_dp_op_CI_CI
	.globl	bluestein_single_back_len17_dim1_dp_op_CI_CI
	.p2align	8
	.type	bluestein_single_back_len17_dim1_dp_op_CI_CI,@function
bluestein_single_back_len17_dim1_dp_op_CI_CI: ; @bluestein_single_back_len17_dim1_dp_op_CI_CI
; %bb.0:
	s_load_dwordx4 s[0:3], s[4:5], 0x28
	v_mad_u64_u32 v[0:1], null, 0x78, s6, v[0:1]
	v_mov_b32_e32 v1, 0
	s_waitcnt lgkmcnt(0)
	v_cmp_gt_u64_e32 vcc_lo, s[0:1], v[0:1]
	s_and_saveexec_b32 s0, vcc_lo
	s_cbranch_execz .LBB0_2
; %bb.1:
	s_clause 0x2
	s_load_dwordx2 s[26:27], s[4:5], 0x0
	s_load_dwordx4 s[8:11], s[4:5], 0x18
	s_load_dwordx2 s[0:1], s[4:5], 0x38
	v_mul_hi_u32 v1, 0x88888889, v0
                                        ; implicit-def: $vgpr136 : SGPR spill to VGPR lane
                                        ; implicit-def: $vgpr135 : SGPR spill to VGPR lane
	s_mov_b32 s20, 0x5d8e7cdc
	s_mov_b32 s22, 0xacd6c6b4
	;; [unrolled: 1-line block ×7, first 2 shown]
	v_lshrrev_b32_e32 v1, 6, v1
	s_mov_b32 s91, 0x3fb79ee6
	s_mov_b32 s92, 0x4363dd80
	;; [unrolled: 1-line block ×4, first 2 shown]
	v_mul_lo_u32 v1, 0x78, v1
	s_mov_b32 s18, s92
	s_mov_b32 s97, 0x3feca52d
	;; [unrolled: 1-line block ×3, first 2 shown]
	s_waitcnt lgkmcnt(0)
	s_load_dwordx16 s[52:67], s[26:27], 0x0
	s_load_dwordx4 s[4:7], s[10:11], 0x0
	v_writelane_b32 v136, s0, 0
	s_load_dwordx4 s[68:71], s[8:9], 0x0
	v_sub_nc_u32_e32 v8, v0, v1
	s_clause 0x1
	s_load_dwordx16 s[36:51], s[26:27], 0x40
	s_load_dwordx16 s[72:87], s[26:27], 0x100
	v_writelane_b32 v136, s1, 1
	s_mov_b32 s88, s20
	v_mul_u32_u24_e32 v86, 0x110, v8
	s_mov_b32 s25, 0x3fc7851a
	s_mov_b32 s24, s22
	;; [unrolled: 1-line block ×7, first 2 shown]
	s_waitcnt lgkmcnt(0)
	v_writelane_b32 v136, s4, 2
	v_mad_u64_u32 v[64:65], null, s6, v0, 0
	s_lshl_b64 s[0:1], s[68:69], 4
	v_writelane_b32 v136, s5, 3
	v_mov_b32_e32 v1, v65
	v_writelane_b32 v136, s6, 4
	v_mad_u64_u32 v[1:2], null, s7, v0, v[1:2]
	v_writelane_b32 v136, s7, 5
	v_mov_b32_e32 v65, v1
	v_mad_u64_u32 v[1:2], null, s70, v0, 0
	v_mad_u64_u32 v[2:3], null, s71, v0, v[2:3]
	s_mov_b32 s70, 0x7faef3
	s_mov_b32 s71, 0xbfef7484
	v_lshlrev_b64 v[0:1], 4, v[1:2]
	v_add_co_u32 v0, vcc_lo, s2, v0
	v_add_co_ci_u32_e32 v1, vcc_lo, s3, v1, vcc_lo
	global_load_dwordx4 v[2:5], v[0:1], off
	s_waitcnt vmcnt(0)
	v_mul_f64 v[6:7], v[4:5], s[54:55]
	v_fma_f64 v[6:7], v[2:3], s[52:53], v[6:7]
	v_mul_f64 v[2:3], v[2:3], s[54:55]
	v_fma_f64 v[8:9], v[4:5], s[52:53], -v[2:3]
	v_add_co_u32 v2, vcc_lo, v0, s0
	v_add_co_ci_u32_e32 v3, vcc_lo, s1, v1, vcc_lo
	s_lshl_b64 s[0:1], s[68:69], 5
	global_load_dwordx4 v[2:5], v[2:3], off
	ds_write_b128 v86, v[6:9]
	s_waitcnt vmcnt(0)
	v_mul_f64 v[6:7], v[4:5], s[58:59]
	v_fma_f64 v[6:7], v[2:3], s[56:57], v[6:7]
	v_mul_f64 v[2:3], v[2:3], s[58:59]
	v_fma_f64 v[8:9], v[4:5], s[56:57], -v[2:3]
	v_add_co_u32 v2, vcc_lo, v0, s0
	v_add_co_ci_u32_e32 v3, vcc_lo, s1, v1, vcc_lo
	s_lshl_b64 s[0:1], s[68:69], 6
	global_load_dwordx4 v[2:5], v[2:3], off
	ds_write_b128 v86, v[6:9] offset:16
	s_waitcnt vmcnt(0)
	v_mul_f64 v[6:7], v[4:5], s[62:63]
	v_fma_f64 v[6:7], v[2:3], s[60:61], v[6:7]
	v_mul_f64 v[2:3], v[2:3], s[62:63]
	v_fma_f64 v[8:9], v[4:5], s[60:61], -v[2:3]
	v_mad_u64_u32 v[2:3], null, s68, 48, v[0:1]
	v_mad_u64_u32 v[3:4], null, s69, 48, v[3:4]
	global_load_dwordx4 v[2:5], v[2:3], off
	ds_write_b128 v86, v[6:9] offset:32
	s_waitcnt vmcnt(0)
	v_mul_f64 v[6:7], v[4:5], s[66:67]
	v_fma_f64 v[6:7], v[2:3], s[64:65], v[6:7]
	v_mul_f64 v[2:3], v[2:3], s[66:67]
	v_fma_f64 v[8:9], v[4:5], s[64:65], -v[2:3]
	v_add_co_u32 v2, vcc_lo, v0, s0
	v_add_co_ci_u32_e32 v3, vcc_lo, s1, v1, vcc_lo
	s_lshl_b64 s[0:1], s[68:69], 7
	global_load_dwordx4 v[2:5], v[2:3], off
	ds_write_b128 v86, v[6:9] offset:48
	s_waitcnt vmcnt(0)
	v_mul_f64 v[6:7], v[4:5], s[38:39]
	v_fma_f64 v[6:7], v[2:3], s[36:37], v[6:7]
	v_mul_f64 v[2:3], v[2:3], s[38:39]
	v_fma_f64 v[8:9], v[4:5], s[36:37], -v[2:3]
	v_mad_u64_u32 v[2:3], null, 0x50, s68, v[0:1]
	v_mad_u64_u32 v[3:4], null, 0x50, s69, v[3:4]
	global_load_dwordx4 v[2:5], v[2:3], off
	ds_write_b128 v86, v[6:9] offset:64
	s_waitcnt vmcnt(0)
	v_mul_f64 v[6:7], v[4:5], s[42:43]
	v_fma_f64 v[6:7], v[2:3], s[40:41], v[6:7]
	v_mul_f64 v[2:3], v[2:3], s[42:43]
	v_fma_f64 v[8:9], v[4:5], s[40:41], -v[2:3]
	v_mad_u64_u32 v[2:3], null, 0x60, s68, v[0:1]
	v_mad_u64_u32 v[3:4], null, 0x60, s69, v[3:4]
	global_load_dwordx4 v[2:5], v[2:3], off
	ds_write_b128 v86, v[6:9] offset:80
	s_waitcnt vmcnt(0)
	v_mul_f64 v[6:7], v[4:5], s[46:47]
	v_fma_f64 v[6:7], v[2:3], s[44:45], v[6:7]
	v_mul_f64 v[2:3], v[2:3], s[46:47]
	v_fma_f64 v[8:9], v[4:5], s[44:45], -v[2:3]
	v_mad_u64_u32 v[2:3], null, 0x70, s68, v[0:1]
	v_mad_u64_u32 v[3:4], null, 0x70, s69, v[3:4]
	global_load_dwordx4 v[2:5], v[2:3], off
	ds_write_b128 v86, v[6:9] offset:96
	s_waitcnt vmcnt(0)
	v_mul_f64 v[6:7], v[4:5], s[50:51]
	v_fma_f64 v[6:7], v[2:3], s[48:49], v[6:7]
	v_mul_f64 v[2:3], v[2:3], s[50:51]
	v_fma_f64 v[8:9], v[4:5], s[48:49], -v[2:3]
	v_add_co_u32 v2, vcc_lo, v0, s0
	v_add_co_ci_u32_e32 v3, vcc_lo, s1, v1, vcc_lo
	s_load_dwordx16 s[0:15], s[26:27], 0x80
	global_load_dwordx4 v[2:5], v[2:3], off
	ds_write_b128 v86, v[6:9] offset:112
	s_waitcnt lgkmcnt(0)
	v_writelane_b32 v136, s0, 6
	v_writelane_b32 v136, s1, 7
	v_writelane_b32 v136, s2, 8
	v_writelane_b32 v136, s3, 9
	v_writelane_b32 v136, s4, 10
	v_writelane_b32 v136, s5, 11
	v_writelane_b32 v136, s6, 12
	v_writelane_b32 v136, s7, 13
	v_writelane_b32 v136, s8, 14
	v_writelane_b32 v136, s9, 15
	v_writelane_b32 v136, s10, 16
	v_writelane_b32 v136, s11, 17
	v_writelane_b32 v136, s12, 18
	v_writelane_b32 v136, s13, 19
	v_writelane_b32 v136, s14, 20
	v_writelane_b32 v136, s15, 21
	s_waitcnt vmcnt(0)
	v_mul_f64 v[6:7], v[4:5], s[2:3]
	v_fma_f64 v[6:7], v[2:3], s[0:1], v[6:7]
	v_mul_f64 v[2:3], v[2:3], s[2:3]
	v_fma_f64 v[8:9], v[4:5], s[0:1], -v[2:3]
	v_mad_u64_u32 v[2:3], null, 0x90, s68, v[0:1]
	v_mad_u64_u32 v[3:4], null, 0x90, s69, v[3:4]
	global_load_dwordx4 v[2:5], v[2:3], off
	ds_write_b128 v86, v[6:9] offset:128
	s_waitcnt vmcnt(0)
	v_mul_f64 v[6:7], v[4:5], s[6:7]
	v_fma_f64 v[6:7], v[2:3], s[4:5], v[6:7]
	v_mul_f64 v[2:3], v[2:3], s[6:7]
	v_fma_f64 v[8:9], v[4:5], s[4:5], -v[2:3]
	v_mad_u64_u32 v[2:3], null, 0xa0, s68, v[0:1]
	v_mad_u64_u32 v[3:4], null, 0xa0, s69, v[3:4]
	global_load_dwordx4 v[2:5], v[2:3], off
	ds_write_b128 v86, v[6:9] offset:144
	s_waitcnt vmcnt(0)
	v_mul_f64 v[6:7], v[4:5], s[10:11]
	v_fma_f64 v[6:7], v[2:3], s[8:9], v[6:7]
	v_mul_f64 v[2:3], v[2:3], s[10:11]
	v_fma_f64 v[8:9], v[4:5], s[8:9], -v[2:3]
	v_mad_u64_u32 v[2:3], null, 0xb0, s68, v[0:1]
	v_mad_u64_u32 v[3:4], null, 0xb0, s69, v[3:4]
	global_load_dwordx4 v[2:5], v[2:3], off
	ds_write_b128 v86, v[6:9] offset:160
	s_waitcnt vmcnt(0)
	v_mul_f64 v[6:7], v[4:5], s[14:15]
	v_fma_f64 v[6:7], v[2:3], s[12:13], v[6:7]
	v_mul_f64 v[2:3], v[2:3], s[14:15]
	v_fma_f64 v[8:9], v[4:5], s[12:13], -v[2:3]
	v_mad_u64_u32 v[2:3], null, 0xc0, s68, v[0:1]
	s_load_dwordx16 s[0:15], s[26:27], 0xc0
	v_mad_u64_u32 v[3:4], null, 0xc0, s69, v[3:4]
	global_load_dwordx4 v[2:5], v[2:3], off
	ds_write_b128 v86, v[6:9] offset:176
	s_waitcnt lgkmcnt(0)
	v_writelane_b32 v136, s0, 22
	v_writelane_b32 v135, s10, 0
	;; [unrolled: 1-line block ×16, first 2 shown]
	s_waitcnt vmcnt(0)
	v_mul_f64 v[6:7], v[4:5], s[2:3]
	v_fma_f64 v[6:7], v[2:3], s[0:1], v[6:7]
	v_mul_f64 v[2:3], v[2:3], s[2:3]
	s_mov_b32 s2, 0x2a9d6da3
	s_mov_b32 s3, 0xbfe58eea
	v_fma_f64 v[8:9], v[4:5], s[0:1], -v[2:3]
	v_mad_u64_u32 v[2:3], null, 0xd0, s68, v[0:1]
	s_lshl_b64 s[0:1], s[68:69], 8
	v_mad_u64_u32 v[3:4], null, 0xd0, s69, v[3:4]
	global_load_dwordx4 v[2:5], v[2:3], off
	ds_write_b128 v86, v[6:9] offset:192
	s_waitcnt vmcnt(0)
	v_mul_f64 v[6:7], v[4:5], s[6:7]
	v_fma_f64 v[6:7], v[2:3], s[4:5], v[6:7]
	v_mul_f64 v[2:3], v[2:3], s[6:7]
	s_mov_b32 s6, 0x6ed5f1bb
	s_mov_b32 s7, 0xbfe348c8
	v_fma_f64 v[8:9], v[4:5], s[4:5], -v[2:3]
	v_mad_u64_u32 v[2:3], null, 0xe0, s68, v[0:1]
	s_mov_b32 s4, 0x370991
	s_mov_b32 s5, 0x3fedd6d0
	v_mad_u64_u32 v[3:4], null, 0xe0, s69, v[3:4]
	global_load_dwordx4 v[2:5], v[2:3], off
	ds_write_b128 v86, v[6:9] offset:208
	s_waitcnt vmcnt(0)
	v_mul_f64 v[6:7], v[4:5], s[10:11]
	v_fma_f64 v[6:7], v[2:3], s[8:9], v[6:7]
	v_mul_f64 v[2:3], v[2:3], s[10:11]
	s_mov_b32 s10, 0x75d4884
	s_mov_b32 s11, 0x3fe7a5f6
	v_fma_f64 v[8:9], v[4:5], s[8:9], -v[2:3]
	v_mad_u64_u32 v[2:3], null, 0xf0, s68, v[0:1]
	v_add_co_u32 v0, vcc_lo, v0, s0
	v_add_co_ci_u32_e32 v1, vcc_lo, s1, v1, vcc_lo
	s_mov_b32 s8, 0x4363dd80
	s_mov_b32 s9, 0xbfe0d888
	v_mad_u64_u32 v[3:4], null, 0xf0, s69, v[3:4]
	s_mov_b32 vcc_lo, 0xc61f0d01
	s_mov_b32 vcc_hi, 0xbfd183b1
	s_mov_b32 s0, 0x6c9a05f6
	s_mov_b32 s1, 0xbfe9895b
	;; [unrolled: 1-line block ×4, first 2 shown]
	global_load_dwordx4 v[2:5], v[2:3], off
	s_mov_b32 s96, s68
	s_mov_b32 s98, s0
	ds_write_b128 v86, v[6:9] offset:224
	s_waitcnt vmcnt(0)
	v_mul_f64 v[6:7], v[4:5], s[14:15]
	v_fma_f64 v[6:7], v[2:3], s[12:13], v[6:7]
	v_mul_f64 v[2:3], v[2:3], s[14:15]
	s_mov_b32 s14, 0xeb564b22
	s_mov_b32 s15, 0xbfefdd0d
	v_fma_f64 v[8:9], v[4:5], s[12:13], -v[2:3]
	global_load_dwordx4 v[0:3], v[0:1], off
	s_mov_b32 s12, 0x923c349f
	s_mov_b32 s13, 0xbfeec746
	ds_write_b128 v86, v[6:9] offset:240
	s_waitcnt vmcnt(0)
	v_mul_f64 v[4:5], v[2:3], s[74:75]
	v_fma_f64 v[4:5], v[0:1], s[72:73], v[4:5]
	v_mul_f64 v[0:1], v[0:1], s[74:75]
	v_fma_f64 v[6:7], v[2:3], s[72:73], -v[0:1]
	v_writelane_b32 v135, s72, 6
	v_writelane_b32 v135, s73, 7
	;; [unrolled: 1-line block ×5, first 2 shown]
	ds_write_b128 v86, v[4:7] offset:256
	s_waitcnt lgkmcnt(0)
	s_barrier
	buffer_gl0_inv
	ds_read_b128 v[56:59], v86
	ds_read_b128 v[70:73], v86 offset:16
	ds_read_b128 v[52:55], v86 offset:32
	;; [unrolled: 1-line block ×16, first 2 shown]
	v_writelane_b32 v135, s77, 11
	s_waitcnt lgkmcnt(15)
	v_add_f64 v[0:1], v[56:57], v[70:71]
	v_add_f64 v[2:3], v[58:59], v[72:73]
	v_writelane_b32 v135, s78, 12
	v_writelane_b32 v135, s79, 13
	;; [unrolled: 1-line block ×3, first 2 shown]
	s_waitcnt lgkmcnt(0)
	v_add_f64 v[68:69], v[70:71], v[74:75]
	v_add_f64 v[66:67], v[72:73], v[76:77]
	v_add_f64 v[70:71], v[70:71], -v[74:75]
	v_add_f64 v[72:73], v[72:73], -v[76:77]
	v_writelane_b32 v135, s81, 15
	v_add_f64 v[0:1], v[0:1], v[52:53]
	v_add_f64 v[2:3], v[2:3], v[54:55]
	v_writelane_b32 v135, s82, 16
	v_writelane_b32 v135, s83, 17
	;; [unrolled: 1-line block ×3, first 2 shown]
	v_mul_f64 v[87:88], v[70:71], s[2:3]
	v_mul_f64 v[82:83], v[72:73], s[2:3]
	s_mov_b32 s2, 0x7c9e640b
	s_mov_b32 s3, 0xbfeca52d
	v_mul_f64 v[123:124], v[72:73], s[8:9]
	v_add_f64 v[0:1], v[0:1], v[44:45]
	v_add_f64 v[2:3], v[2:3], v[46:47]
	v_mul_f64 v[91:92], v[72:73], s[2:3]
	v_mul_f64 v[95:96], v[70:71], s[2:3]
	s_mov_b32 s2, 0xeb564b22
	s_mov_b32 s3, 0xbfefdd0d
	v_mul_f64 v[78:79], v[70:71], s[20:21]
	v_mul_f64 v[99:100], v[72:73], s[2:3]
	;; [unrolled: 1-line block ×3, first 2 shown]
	s_mov_b32 s2, 0x923c349f
	s_mov_b32 s3, 0xbfeec746
	v_mul_f64 v[127:128], v[70:71], s[8:9]
	v_mul_f64 v[107:108], v[72:73], s[2:3]
	;; [unrolled: 1-line block ×3, first 2 shown]
	s_mov_b32 s2, 0x6c9a05f6
	s_mov_b32 s3, 0xbfe9895b
	;; [unrolled: 1-line block ×3, first 2 shown]
	v_mul_f64 v[115:116], v[72:73], s[2:3]
	v_mul_f64 v[119:120], v[70:71], s[2:3]
	s_mov_b32 s2, 0x910ea3b9
	s_mov_b32 s3, 0xbfeb34fa
	v_fma_f64 v[84:85], v[68:69], s[10:11], -v[82:83]
	v_add_f64 v[0:1], v[0:1], v[36:37]
	v_add_f64 v[2:3], v[2:3], v[38:39]
	v_fma_f64 v[82:83], v[68:69], s[10:11], v[82:83]
	v_fma_f64 v[93:94], v[68:69], s[94:95], -v[91:92]
	v_fma_f64 v[91:92], v[68:69], s[94:95], v[91:92]
	v_fma_f64 v[125:126], v[68:69], s[2:3], -v[123:124]
	;; [unrolled: 2-line block ×3, first 2 shown]
	v_fma_f64 v[99:100], v[68:69], s[90:91], v[99:100]
	v_mul_f64 v[70:71], v[70:71], s[22:23]
	v_fma_f64 v[80:81], v[66:67], s[4:5], v[78:79]
	v_fma_f64 v[78:79], v[66:67], s[4:5], -v[78:79]
	v_fma_f64 v[109:110], v[68:69], vcc, -v[107:108]
	v_fma_f64 v[107:108], v[68:69], vcc, v[107:108]
	v_fma_f64 v[89:90], v[66:67], s[10:11], v[87:88]
	v_fma_f64 v[87:88], v[66:67], s[10:11], -v[87:88]
	v_fma_f64 v[97:98], v[66:67], s[94:95], v[95:96]
	v_fma_f64 v[117:118], v[68:69], s[6:7], -v[115:116]
	;; [unrolled: 2-line block ×3, first 2 shown]
	v_fma_f64 v[105:106], v[66:67], s[90:91], v[103:104]
	v_add_f64 v[84:85], v[56:57], v[84:85]
	v_add_f64 v[0:1], v[0:1], v[28:29]
	;; [unrolled: 1-line block ×6, first 2 shown]
	v_fma_f64 v[103:104], v[66:67], s[90:91], -v[103:104]
	v_fma_f64 v[113:114], v[66:67], vcc, v[111:112]
	v_add_f64 v[101:102], v[56:57], v[101:102]
	v_add_f64 v[99:100], v[56:57], v[99:100]
	v_fma_f64 v[111:112], v[66:67], vcc, -v[111:112]
	v_fma_f64 v[121:122], v[66:67], s[6:7], v[119:120]
	v_fma_f64 v[119:120], v[66:67], s[6:7], -v[119:120]
	v_add_f64 v[109:110], v[56:57], v[109:110]
	v_add_f64 v[107:108], v[56:57], v[107:108]
	;; [unrolled: 1-line block ×3, first 2 shown]
	v_fma_f64 v[129:130], v[66:67], s[2:3], v[127:128]
	v_add_f64 v[123:124], v[56:57], v[123:124]
	v_add_f64 v[117:118], v[56:57], v[117:118]
	;; [unrolled: 1-line block ×3, first 2 shown]
	v_fma_f64 v[127:128], v[66:67], s[2:3], -v[127:128]
	v_fma_f64 v[133:134], v[66:67], s[70:71], v[70:71]
	v_fma_f64 v[66:67], v[66:67], s[70:71], -v[70:71]
	v_add_f64 v[0:1], v[0:1], v[20:21]
	v_add_f64 v[2:3], v[2:3], v[22:23]
	s_mov_b32 s9, 0xbfe58eea
	v_add_f64 v[80:81], v[58:59], v[80:81]
	v_add_f64 v[78:79], v[58:59], v[78:79]
	;; [unrolled: 1-line block ×13, first 2 shown]
	v_writelane_b32 v135, s85, 19
	v_add_f64 v[127:128], v[58:59], v[127:128]
	v_add_f64 v[133:134], v[58:59], v[133:134]
	v_add_f64 v[58:59], v[58:59], v[66:67]
	v_add_f64 v[0:1], v[0:1], v[12:13]
	v_add_f64 v[2:3], v[2:3], v[14:15]
	v_add_f64 v[66:67], v[52:53], v[60:61]
	v_add_f64 v[52:53], v[52:53], -v[60:61]
	v_writelane_b32 v135, s86, 20
	v_writelane_b32 v135, s87, 21
	v_add_f64 v[0:1], v[0:1], v[4:5]
	v_add_f64 v[2:3], v[2:3], v[6:7]
	v_mul_f64 v[70:71], v[52:53], s[8:9]
	v_add_f64 v[0:1], v[0:1], v[8:9]
	v_add_f64 v[2:3], v[2:3], v[10:11]
	;; [unrolled: 1-line block ×15, first 2 shown]
	v_mul_f64 v[74:75], v[72:73], s[20:21]
	v_mul_f64 v[72:73], v[72:73], s[22:23]
	v_add_f64 v[2:3], v[2:3], v[76:77]
	v_fma_f64 v[76:77], v[68:69], s[4:5], -v[74:75]
	v_fma_f64 v[74:75], v[68:69], s[4:5], v[74:75]
	v_fma_f64 v[131:132], v[68:69], s[70:71], -v[72:73]
	v_fma_f64 v[68:69], v[68:69], s[70:71], v[72:73]
	v_add_f64 v[76:77], v[56:57], v[76:77]
	v_add_f64 v[74:75], v[56:57], v[74:75]
	;; [unrolled: 1-line block ×5, first 2 shown]
	v_add_f64 v[54:55], v[54:55], -v[62:63]
	v_fma_f64 v[72:73], v[68:69], s[10:11], v[70:71]
	v_mul_f64 v[60:61], v[54:55], s[8:9]
	v_fma_f64 v[70:71], v[68:69], s[10:11], -v[70:71]
	s_mov_b32 s9, 0x3feec746
	s_mov_b32 s8, s12
	v_add_f64 v[72:73], v[72:73], v[80:81]
	v_fma_f64 v[62:63], v[66:67], s[10:11], -v[60:61]
	v_fma_f64 v[60:61], v[66:67], s[10:11], v[60:61]
	v_add_f64 v[70:71], v[70:71], v[78:79]
	v_mul_f64 v[78:79], v[52:53], s[14:15]
	v_add_f64 v[62:63], v[62:63], v[76:77]
	v_add_f64 v[60:61], v[60:61], v[74:75]
	v_mul_f64 v[74:75], v[54:55], s[14:15]
	v_fma_f64 v[80:81], v[68:69], s[90:91], v[78:79]
	v_fma_f64 v[78:79], v[68:69], s[90:91], -v[78:79]
	v_fma_f64 v[76:77], v[66:67], s[90:91], -v[74:75]
	v_fma_f64 v[74:75], v[66:67], s[90:91], v[74:75]
	v_add_f64 v[78:79], v[78:79], v[87:88]
	v_mul_f64 v[87:88], v[52:53], s[0:1]
	v_add_f64 v[80:81], v[80:81], v[89:90]
	v_add_f64 v[76:77], v[76:77], v[84:85]
	v_add_f64 v[74:75], v[74:75], v[82:83]
	v_mul_f64 v[82:83], v[54:55], s[0:1]
	v_fma_f64 v[89:90], v[68:69], s[6:7], v[87:88]
	v_fma_f64 v[87:88], v[68:69], s[6:7], -v[87:88]
	v_fma_f64 v[84:85], v[66:67], s[6:7], -v[82:83]
	v_fma_f64 v[82:83], v[66:67], s[6:7], v[82:83]
	v_add_f64 v[87:88], v[87:88], v[95:96]
	v_mul_f64 v[95:96], v[52:53], s[22:23]
	v_add_f64 v[89:90], v[89:90], v[97:98]
	;; [unrolled: 10-line block ×4, first 2 shown]
	v_add_f64 v[101:102], v[101:102], v[109:110]
	v_add_f64 v[99:100], v[99:100], v[107:108]
	v_mul_f64 v[107:108], v[54:55], s[8:9]
	v_fma_f64 v[113:114], v[68:69], vcc, v[111:112]
	v_fma_f64 v[111:112], v[68:69], vcc, -v[111:112]
	v_fma_f64 v[109:110], v[66:67], vcc, -v[107:108]
	v_fma_f64 v[107:108], v[66:67], vcc, v[107:108]
	v_add_f64 v[111:112], v[111:112], v[119:120]
	v_mul_f64 v[119:120], v[52:53], s[96:97]
	v_mul_f64 v[52:53], v[52:53], s[88:89]
	v_add_f64 v[113:114], v[113:114], v[121:122]
	v_add_f64 v[109:110], v[109:110], v[117:118]
	;; [unrolled: 1-line block ×3, first 2 shown]
	v_mul_f64 v[115:116], v[54:55], s[96:97]
	v_mul_f64 v[54:55], v[54:55], s[88:89]
	v_fma_f64 v[121:122], v[68:69], s[94:95], v[119:120]
	v_fma_f64 v[119:120], v[68:69], s[94:95], -v[119:120]
	v_fma_f64 v[117:118], v[66:67], s[94:95], -v[115:116]
	v_fma_f64 v[115:116], v[66:67], s[94:95], v[115:116]
	v_add_f64 v[121:122], v[121:122], v[129:130]
	v_add_f64 v[119:120], v[119:120], v[127:128]
	v_add_f64 v[117:118], v[117:118], v[125:126]
	v_fma_f64 v[125:126], v[68:69], s[4:5], v[52:53]
	v_fma_f64 v[52:53], v[68:69], s[4:5], -v[52:53]
	v_add_f64 v[115:116], v[115:116], v[123:124]
	v_fma_f64 v[123:124], v[66:67], s[4:5], -v[54:55]
	v_fma_f64 v[54:55], v[66:67], s[4:5], v[54:55]
	v_add_f64 v[125:126], v[125:126], v[133:134]
	v_add_f64 v[52:53], v[52:53], v[58:59]
	;; [unrolled: 1-line block ×3, first 2 shown]
	v_add_f64 v[46:47], v[46:47], -v[50:51]
	v_add_f64 v[54:55], v[54:55], v[56:57]
	v_add_f64 v[56:57], v[44:45], v[48:49]
	v_add_f64 v[44:45], v[44:45], -v[48:49]
	v_add_f64 v[123:124], v[123:124], v[131:132]
	v_mul_f64 v[48:49], v[46:47], s[68:69]
	v_fma_f64 v[50:51], v[56:57], s[94:95], -v[48:49]
	v_fma_f64 v[48:49], v[56:57], s[94:95], v[48:49]
	v_add_f64 v[50:51], v[50:51], v[62:63]
	v_mul_f64 v[62:63], v[44:45], s[68:69]
	v_add_f64 v[48:49], v[48:49], v[60:61]
	v_fma_f64 v[66:67], v[58:59], s[94:95], v[62:63]
	v_fma_f64 v[60:61], v[58:59], s[94:95], -v[62:63]
	v_mul_f64 v[62:63], v[46:47], s[0:1]
	v_add_f64 v[66:67], v[66:67], v[72:73]
	v_add_f64 v[60:61], v[60:61], v[70:71]
	v_fma_f64 v[68:69], v[56:57], s[6:7], -v[62:63]
	v_fma_f64 v[62:63], v[56:57], s[6:7], v[62:63]
	v_mul_f64 v[70:71], v[44:45], s[0:1]
	v_add_f64 v[68:69], v[68:69], v[76:77]
	v_add_f64 v[62:63], v[62:63], v[74:75]
	v_mul_f64 v[74:75], v[46:47], s[24:25]
	v_fma_f64 v[72:73], v[58:59], s[6:7], v[70:71]
	v_fma_f64 v[70:71], v[58:59], s[6:7], -v[70:71]
	v_fma_f64 v[76:77], v[56:57], s[70:71], -v[74:75]
	v_fma_f64 v[74:75], v[56:57], s[70:71], v[74:75]
	v_add_f64 v[70:71], v[70:71], v[78:79]
	v_mul_f64 v[78:79], v[44:45], s[24:25]
	v_add_f64 v[72:73], v[72:73], v[80:81]
	v_add_f64 v[76:77], v[76:77], v[84:85]
	v_add_f64 v[74:75], v[74:75], v[82:83]
	v_mul_f64 v[82:83], v[46:47], s[8:9]
	v_fma_f64 v[80:81], v[58:59], s[70:71], v[78:79]
	v_fma_f64 v[78:79], v[58:59], s[70:71], -v[78:79]
	v_fma_f64 v[84:85], v[56:57], vcc, -v[82:83]
	v_fma_f64 v[82:83], v[56:57], vcc, v[82:83]
	v_add_f64 v[78:79], v[78:79], v[87:88]
	v_mul_f64 v[87:88], v[44:45], s[8:9]
	v_add_f64 v[80:81], v[80:81], v[89:90]
	v_add_f64 v[84:85], v[84:85], v[93:94]
	;; [unrolled: 1-line block ×3, first 2 shown]
	v_mul_f64 v[91:92], v[46:47], s[16:17]
	v_fma_f64 v[89:90], v[58:59], vcc, v[87:88]
	v_fma_f64 v[87:88], v[58:59], vcc, -v[87:88]
	v_fma_f64 v[93:94], v[56:57], s[10:11], -v[91:92]
	v_fma_f64 v[91:92], v[56:57], s[10:11], v[91:92]
	v_add_f64 v[87:88], v[87:88], v[95:96]
	v_mul_f64 v[95:96], v[44:45], s[16:17]
	v_add_f64 v[89:90], v[89:90], v[97:98]
	v_add_f64 v[93:94], v[93:94], v[101:102]
	;; [unrolled: 1-line block ×3, first 2 shown]
	v_mul_f64 v[99:100], v[46:47], s[20:21]
	v_fma_f64 v[97:98], v[58:59], s[10:11], v[95:96]
	v_fma_f64 v[95:96], v[58:59], s[10:11], -v[95:96]
	v_fma_f64 v[101:102], v[56:57], s[4:5], -v[99:100]
	v_fma_f64 v[99:100], v[56:57], s[4:5], v[99:100]
	v_add_f64 v[95:96], v[95:96], v[103:104]
	v_mul_f64 v[103:104], v[44:45], s[20:21]
	v_add_f64 v[97:98], v[97:98], v[105:106]
	v_add_f64 v[101:102], v[101:102], v[109:110]
	;; [unrolled: 1-line block ×3, first 2 shown]
	v_mul_f64 v[107:108], v[46:47], s[14:15]
	v_fma_f64 v[105:106], v[58:59], s[4:5], v[103:104]
	v_fma_f64 v[103:104], v[58:59], s[4:5], -v[103:104]
	v_mul_f64 v[46:47], v[46:47], s[92:93]
	v_fma_f64 v[109:110], v[56:57], s[90:91], -v[107:108]
	v_fma_f64 v[107:108], v[56:57], s[90:91], v[107:108]
	v_add_f64 v[103:104], v[103:104], v[111:112]
	v_mul_f64 v[111:112], v[44:45], s[14:15]
	v_mul_f64 v[44:45], v[44:45], s[92:93]
	v_add_f64 v[105:106], v[105:106], v[113:114]
	v_add_f64 v[109:110], v[109:110], v[117:118]
	;; [unrolled: 1-line block ×3, first 2 shown]
	v_fma_f64 v[115:116], v[56:57], s[2:3], -v[46:47]
	v_fma_f64 v[46:47], v[56:57], s[2:3], v[46:47]
	v_fma_f64 v[117:118], v[58:59], s[2:3], v[44:45]
	v_fma_f64 v[44:45], v[58:59], s[2:3], -v[44:45]
	v_fma_f64 v[113:114], v[58:59], s[90:91], v[111:112]
	v_fma_f64 v[111:112], v[58:59], s[90:91], -v[111:112]
	v_add_f64 v[115:116], v[115:116], v[123:124]
	v_add_f64 v[46:47], v[46:47], v[54:55]
	;; [unrolled: 1-line block ×3, first 2 shown]
	v_add_f64 v[38:39], v[38:39], -v[42:43]
	v_add_f64 v[44:45], v[44:45], v[52:53]
	v_add_f64 v[52:53], v[36:37], v[40:41]
	v_add_f64 v[36:37], v[36:37], -v[40:41]
	v_add_f64 v[113:114], v[113:114], v[121:122]
	v_add_f64 v[111:112], v[111:112], v[119:120]
	;; [unrolled: 1-line block ×3, first 2 shown]
	v_mul_f64 v[40:41], v[38:39], s[14:15]
	v_fma_f64 v[42:43], v[52:53], s[90:91], -v[40:41]
	v_fma_f64 v[40:41], v[52:53], s[90:91], v[40:41]
	v_add_f64 v[42:43], v[42:43], v[50:51]
	v_mul_f64 v[50:51], v[36:37], s[14:15]
	v_add_f64 v[40:41], v[40:41], v[48:49]
	v_fma_f64 v[56:57], v[54:55], s[90:91], v[50:51]
	v_fma_f64 v[48:49], v[54:55], s[90:91], -v[50:51]
	v_mul_f64 v[50:51], v[38:39], s[22:23]
	v_add_f64 v[56:57], v[56:57], v[66:67]
	v_add_f64 v[48:49], v[48:49], v[60:61]
	v_fma_f64 v[58:59], v[52:53], s[70:71], -v[50:51]
	v_fma_f64 v[50:51], v[52:53], s[70:71], v[50:51]
	v_mul_f64 v[60:61], v[36:37], s[22:23]
	v_add_f64 v[58:59], v[58:59], v[68:69]
	v_add_f64 v[50:51], v[50:51], v[62:63]
	v_mul_f64 v[62:63], v[38:39], s[8:9]
	v_fma_f64 v[66:67], v[54:55], s[70:71], v[60:61]
	v_fma_f64 v[60:61], v[54:55], s[70:71], -v[60:61]
	v_fma_f64 v[68:69], v[52:53], vcc, -v[62:63]
	v_fma_f64 v[62:63], v[52:53], vcc, v[62:63]
	v_add_f64 v[60:61], v[60:61], v[70:71]
	v_mul_f64 v[70:71], v[36:37], s[8:9]
	v_add_f64 v[66:67], v[66:67], v[72:73]
	v_add_f64 v[68:69], v[68:69], v[76:77]
	;; [unrolled: 1-line block ×3, first 2 shown]
	v_mul_f64 v[74:75], v[38:39], s[88:89]
	v_fma_f64 v[72:73], v[54:55], vcc, v[70:71]
	v_fma_f64 v[70:71], v[54:55], vcc, -v[70:71]
	v_fma_f64 v[76:77], v[52:53], s[4:5], -v[74:75]
	v_fma_f64 v[74:75], v[52:53], s[4:5], v[74:75]
	v_add_f64 v[70:71], v[70:71], v[78:79]
	v_mul_f64 v[78:79], v[36:37], s[88:89]
	v_add_f64 v[72:73], v[72:73], v[80:81]
	v_add_f64 v[76:77], v[76:77], v[84:85]
	v_add_f64 v[74:75], v[74:75], v[82:83]
	v_mul_f64 v[82:83], v[38:39], s[68:69]
	v_fma_f64 v[80:81], v[54:55], s[4:5], v[78:79]
	v_fma_f64 v[78:79], v[54:55], s[4:5], -v[78:79]
	v_fma_f64 v[84:85], v[52:53], s[94:95], -v[82:83]
	v_fma_f64 v[82:83], v[52:53], s[94:95], v[82:83]
	v_add_f64 v[78:79], v[78:79], v[87:88]
	v_mul_f64 v[87:88], v[36:37], s[68:69]
	v_add_f64 v[80:81], v[80:81], v[89:90]
	v_add_f64 v[84:85], v[84:85], v[93:94]
	v_add_f64 v[82:83], v[82:83], v[91:92]
	v_mul_f64 v[91:92], v[38:39], s[92:93]
	v_fma_f64 v[89:90], v[54:55], s[94:95], v[87:88]
	v_fma_f64 v[87:88], v[54:55], s[94:95], -v[87:88]
	;; [unrolled: 10-line block ×3, first 2 shown]
	v_mul_f64 v[38:39], v[38:39], s[16:17]
	v_fma_f64 v[101:102], v[52:53], s[6:7], -v[99:100]
	v_fma_f64 v[99:100], v[52:53], s[6:7], v[99:100]
	v_add_f64 v[95:96], v[95:96], v[103:104]
	v_mul_f64 v[103:104], v[36:37], s[98:99]
	v_mul_f64 v[36:37], v[36:37], s[16:17]
	v_add_f64 v[97:98], v[97:98], v[105:106]
	v_add_f64 v[101:102], v[101:102], v[109:110]
	;; [unrolled: 1-line block ×3, first 2 shown]
	v_fma_f64 v[107:108], v[52:53], s[10:11], -v[38:39]
	v_fma_f64 v[38:39], v[52:53], s[10:11], v[38:39]
	v_fma_f64 v[109:110], v[54:55], s[10:11], v[36:37]
	v_fma_f64 v[36:37], v[54:55], s[10:11], -v[36:37]
	v_fma_f64 v[105:106], v[54:55], s[6:7], v[103:104]
	v_fma_f64 v[103:104], v[54:55], s[6:7], -v[103:104]
	v_add_f64 v[107:108], v[107:108], v[115:116]
	v_add_f64 v[38:39], v[38:39], v[46:47]
	;; [unrolled: 1-line block ×3, first 2 shown]
	v_add_f64 v[30:31], v[30:31], -v[34:35]
	v_add_f64 v[36:37], v[36:37], v[44:45]
	v_add_f64 v[44:45], v[28:29], v[32:33]
	v_add_f64 v[28:29], v[28:29], -v[32:33]
	v_add_f64 v[105:106], v[105:106], v[113:114]
	v_add_f64 v[103:104], v[103:104], v[111:112]
	;; [unrolled: 1-line block ×3, first 2 shown]
	v_add_f64 v[111:112], v[14:15], -v[18:19]
	v_mul_f64 v[32:33], v[30:31], s[12:13]
	v_mul_f64 v[54:55], v[28:29], s[18:19]
	v_fma_f64 v[34:35], v[44:45], vcc, -v[32:33]
	v_fma_f64 v[32:33], v[44:45], vcc, v[32:33]
	v_add_f64 v[34:35], v[34:35], v[42:43]
	v_mul_f64 v[42:43], v[28:29], s[12:13]
	v_add_f64 v[32:33], v[32:33], v[40:41]
	v_fma_f64 v[52:53], v[46:47], vcc, v[42:43]
	v_fma_f64 v[40:41], v[46:47], vcc, -v[42:43]
	v_mul_f64 v[42:43], v[30:31], s[18:19]
	v_add_f64 v[52:53], v[52:53], v[56:57]
	v_add_f64 v[40:41], v[40:41], v[48:49]
	v_fma_f64 v[48:49], v[44:45], s[2:3], -v[42:43]
	v_fma_f64 v[42:43], v[44:45], s[2:3], v[42:43]
	v_fma_f64 v[56:57], v[46:47], s[2:3], v[54:55]
	v_add_f64 v[48:49], v[48:49], v[58:59]
	v_add_f64 v[42:43], v[42:43], v[50:51]
	v_fma_f64 v[50:51], v[46:47], s[2:3], -v[54:55]
	v_mul_f64 v[54:55], v[30:31], s[16:17]
	v_add_f64 v[56:57], v[56:57], v[66:67]
	v_add_f64 v[50:51], v[50:51], v[60:61]
	v_fma_f64 v[58:59], v[44:45], s[10:11], -v[54:55]
	v_fma_f64 v[54:55], v[44:45], s[10:11], v[54:55]
	v_mul_f64 v[60:61], v[28:29], s[16:17]
	v_add_f64 v[58:59], v[58:59], v[68:69]
	v_add_f64 v[54:55], v[54:55], v[62:63]
	v_mul_f64 v[62:63], v[30:31], s[68:69]
	v_fma_f64 v[66:67], v[46:47], s[10:11], v[60:61]
	v_fma_f64 v[60:61], v[46:47], s[10:11], -v[60:61]
	v_fma_f64 v[68:69], v[44:45], s[94:95], -v[62:63]
	v_fma_f64 v[62:63], v[44:45], s[94:95], v[62:63]
	v_add_f64 v[60:61], v[60:61], v[70:71]
	v_mul_f64 v[70:71], v[28:29], s[68:69]
	v_add_f64 v[66:67], v[66:67], v[72:73]
	s_mov_b32 s69, 0x3fefdd0d
	s_mov_b32 s68, s14
	v_add_f64 v[68:69], v[68:69], v[76:77]
	v_add_f64 v[62:63], v[62:63], v[74:75]
	v_mul_f64 v[74:75], v[30:31], s[22:23]
	v_fma_f64 v[72:73], v[46:47], s[94:95], v[70:71]
	v_fma_f64 v[70:71], v[46:47], s[94:95], -v[70:71]
	v_fma_f64 v[76:77], v[44:45], s[70:71], -v[74:75]
	v_fma_f64 v[74:75], v[44:45], s[70:71], v[74:75]
	v_add_f64 v[70:71], v[70:71], v[78:79]
	v_mul_f64 v[78:79], v[28:29], s[22:23]
	v_add_f64 v[72:73], v[72:73], v[80:81]
	v_add_f64 v[76:77], v[76:77], v[84:85]
	v_add_f64 v[74:75], v[74:75], v[82:83]
	v_mul_f64 v[82:83], v[30:31], s[68:69]
	v_fma_f64 v[80:81], v[46:47], s[70:71], v[78:79]
	v_fma_f64 v[78:79], v[46:47], s[70:71], -v[78:79]
	v_fma_f64 v[84:85], v[44:45], s[90:91], -v[82:83]
	v_fma_f64 v[82:83], v[44:45], s[90:91], v[82:83]
	v_add_f64 v[78:79], v[78:79], v[87:88]
	v_mul_f64 v[87:88], v[28:29], s[68:69]
	v_add_f64 v[80:81], v[80:81], v[89:90]
	v_add_f64 v[84:85], v[84:85], v[93:94]
	;; [unrolled: 1-line block ×3, first 2 shown]
	v_mul_f64 v[91:92], v[30:31], s[20:21]
	v_fma_f64 v[89:90], v[46:47], s[90:91], v[87:88]
	v_fma_f64 v[87:88], v[46:47], s[90:91], -v[87:88]
	v_mul_f64 v[30:31], v[30:31], s[0:1]
	v_fma_f64 v[93:94], v[44:45], s[4:5], -v[91:92]
	v_fma_f64 v[91:92], v[44:45], s[4:5], v[91:92]
	v_add_f64 v[87:88], v[87:88], v[95:96]
	v_mul_f64 v[95:96], v[28:29], s[20:21]
	v_mul_f64 v[28:29], v[28:29], s[0:1]
	v_add_f64 v[89:90], v[89:90], v[97:98]
	v_add_f64 v[93:94], v[93:94], v[101:102]
	;; [unrolled: 1-line block ×3, first 2 shown]
	v_fma_f64 v[99:100], v[44:45], s[6:7], -v[30:31]
	v_fma_f64 v[30:31], v[44:45], s[6:7], v[30:31]
	v_fma_f64 v[101:102], v[46:47], s[6:7], v[28:29]
	v_fma_f64 v[28:29], v[46:47], s[6:7], -v[28:29]
	v_fma_f64 v[97:98], v[46:47], s[4:5], v[95:96]
	v_fma_f64 v[95:96], v[46:47], s[4:5], -v[95:96]
	v_add_f64 v[99:100], v[99:100], v[107:108]
	v_add_f64 v[30:31], v[30:31], v[38:39]
	;; [unrolled: 1-line block ×3, first 2 shown]
	v_add_f64 v[22:23], v[22:23], -v[26:27]
	v_add_f64 v[28:29], v[28:29], v[36:37]
	v_add_f64 v[36:37], v[20:21], v[24:25]
	v_add_f64 v[20:21], v[20:21], -v[24:25]
	v_add_f64 v[97:98], v[97:98], v[105:106]
	v_add_f64 v[95:96], v[95:96], v[103:104]
	;; [unrolled: 1-line block ×4, first 2 shown]
	v_add_f64 v[109:110], v[12:13], -v[16:17]
	v_mul_f64 v[12:13], v[111:112], s[92:93]
	v_add_f64 v[107:108], v[14:15], v[18:19]
	v_mul_f64 v[24:25], v[22:23], s[0:1]
	v_mul_f64 v[46:47], v[20:21], s[8:9]
	v_fma_f64 v[14:15], v[105:106], s[2:3], -v[12:13]
	v_fma_f64 v[12:13], v[105:106], s[2:3], v[12:13]
	v_fma_f64 v[26:27], v[36:37], s[6:7], -v[24:25]
	v_fma_f64 v[24:25], v[36:37], s[6:7], v[24:25]
	v_add_f64 v[26:27], v[26:27], v[34:35]
	v_mul_f64 v[34:35], v[20:21], s[0:1]
	v_add_f64 v[24:25], v[24:25], v[32:33]
	s_mov_b64 s[0:1], s[8:9]
	v_fma_f64 v[44:45], v[38:39], s[6:7], v[34:35]
	v_fma_f64 v[32:33], v[38:39], s[6:7], -v[34:35]
	v_mul_f64 v[34:35], v[22:23], s[8:9]
	s_mov_b32 s8, 0x6c9a05f6
	s_mov_b32 s9, 0xbfe9895b
	v_add_f64 v[44:45], v[44:45], v[52:53]
	v_add_f64 v[32:33], v[32:33], v[40:41]
	v_fma_f64 v[40:41], v[36:37], vcc, -v[34:35]
	v_fma_f64 v[34:35], v[36:37], vcc, v[34:35]
	v_mul_f64 v[52:53], v[20:21], s[20:21]
	v_add_f64 v[40:41], v[40:41], v[48:49]
	v_fma_f64 v[48:49], v[38:39], vcc, v[46:47]
	v_add_f64 v[34:35], v[34:35], v[42:43]
	v_fma_f64 v[42:43], v[38:39], vcc, -v[46:47]
	v_mul_f64 v[46:47], v[22:23], s[20:21]
	v_add_f64 v[48:49], v[48:49], v[56:57]
	v_fma_f64 v[56:57], v[38:39], s[4:5], v[52:53]
	v_fma_f64 v[52:53], v[38:39], s[4:5], -v[52:53]
	v_add_f64 v[42:43], v[42:43], v[50:51]
	v_fma_f64 v[50:51], v[36:37], s[4:5], -v[46:47]
	v_fma_f64 v[46:47], v[36:37], s[4:5], v[46:47]
	v_add_f64 v[56:57], v[56:57], v[66:67]
	v_add_f64 v[52:53], v[52:53], v[60:61]
	v_mul_f64 v[60:61], v[20:21], s[92:93]
	v_add_f64 v[50:51], v[50:51], v[58:59]
	v_add_f64 v[46:47], v[46:47], v[54:55]
	v_mul_f64 v[54:55], v[22:23], s[92:93]
	v_fma_f64 v[66:67], v[38:39], s[2:3], v[60:61]
	v_fma_f64 v[60:61], v[38:39], s[2:3], -v[60:61]
	v_fma_f64 v[58:59], v[36:37], s[2:3], -v[54:55]
	v_fma_f64 v[54:55], v[36:37], s[2:3], v[54:55]
	v_add_f64 v[66:67], v[66:67], v[72:73]
	v_add_f64 v[60:61], v[60:61], v[70:71]
	v_mul_f64 v[70:71], v[20:21], s[68:69]
	v_add_f64 v[58:59], v[58:59], v[68:69]
	v_add_f64 v[54:55], v[54:55], v[62:63]
	v_mul_f64 v[62:63], v[22:23], s[68:69]
	v_fma_f64 v[72:73], v[38:39], s[90:91], v[70:71]
	v_fma_f64 v[70:71], v[38:39], s[90:91], -v[70:71]
	v_fma_f64 v[68:69], v[36:37], s[90:91], -v[62:63]
	v_fma_f64 v[62:63], v[36:37], s[90:91], v[62:63]
	v_add_f64 v[80:81], v[72:73], v[80:81]
	v_mul_f64 v[72:73], v[22:23], s[34:35]
	v_add_f64 v[70:71], v[70:71], v[78:79]
	v_add_f64 v[68:69], v[68:69], v[76:77]
	;; [unrolled: 1-line block ×3, first 2 shown]
	v_fma_f64 v[74:75], v[36:37], s[10:11], -v[72:73]
	v_fma_f64 v[72:73], v[36:37], s[10:11], v[72:73]
	v_add_f64 v[78:79], v[74:75], v[84:85]
	v_mul_f64 v[74:75], v[20:21], s[34:35]
	v_add_f64 v[82:83], v[72:73], v[82:83]
	v_fma_f64 v[72:73], v[38:39], s[10:11], -v[74:75]
	v_fma_f64 v[76:77], v[38:39], s[10:11], v[74:75]
	v_add_f64 v[87:88], v[72:73], v[87:88]
	v_mul_f64 v[72:73], v[22:23], s[22:23]
	v_add_f64 v[84:85], v[76:77], v[89:90]
	v_mul_f64 v[22:23], v[22:23], s[96:97]
	v_fma_f64 v[74:75], v[36:37], s[70:71], -v[72:73]
	v_fma_f64 v[72:73], v[36:37], s[70:71], v[72:73]
	v_add_f64 v[89:90], v[74:75], v[93:94]
	v_mul_f64 v[74:75], v[20:21], s[22:23]
	v_add_f64 v[91:92], v[72:73], v[91:92]
	v_mul_f64 v[20:21], v[20:21], s[96:97]
	v_fma_f64 v[72:73], v[38:39], s[70:71], -v[74:75]
	v_fma_f64 v[76:77], v[38:39], s[70:71], v[74:75]
	v_add_f64 v[95:96], v[72:73], v[95:96]
	v_fma_f64 v[72:73], v[36:37], s[94:95], -v[22:23]
	v_add_f64 v[93:94], v[76:77], v[97:98]
	v_add_f64 v[76:77], v[14:15], v[26:27]
	v_mul_f64 v[14:15], v[109:110], s[92:93]
	v_fma_f64 v[22:23], v[36:37], s[94:95], v[22:23]
	v_mul_f64 v[36:37], v[109:110], s[98:99]
	v_add_f64 v[97:98], v[72:73], v[99:100]
	v_fma_f64 v[72:73], v[38:39], s[94:95], v[20:21]
	v_fma_f64 v[20:21], v[38:39], s[94:95], -v[20:21]
	v_fma_f64 v[16:17], v[107:108], s[2:3], v[14:15]
	v_mul_f64 v[38:39], v[111:112], s[20:21]
	v_add_f64 v[99:100], v[72:73], v[101:102]
	v_add_f64 v[72:73], v[12:13], v[24:25]
	v_fma_f64 v[12:13], v[107:108], s[2:3], -v[14:15]
	v_mul_f64 v[14:15], v[111:112], s[96:97]
	v_add_f64 v[103:104], v[20:21], v[28:29]
	v_mul_f64 v[20:21], v[109:110], s[96:97]
	v_add_f64 v[101:102], v[22:23], v[30:31]
	v_add_f64 v[18:19], v[16:17], v[44:45]
	v_mul_f64 v[22:23], v[111:112], s[14:15]
	v_mul_f64 v[28:29], v[109:110], s[14:15]
	;; [unrolled: 1-line block ×4, first 2 shown]
	s_mov_b32 s14, 0x2a9d6da3
	s_mov_b32 s15, 0xbfe58eea
	v_add_f64 v[74:75], v[12:13], v[32:33]
	v_fma_f64 v[12:13], v[105:106], s[94:95], -v[14:15]
	v_fma_f64 v[14:15], v[105:106], s[94:95], v[14:15]
	v_add_f64 v[16:17], v[12:13], v[40:41]
	v_fma_f64 v[12:13], v[107:108], s[94:95], v[20:21]
	v_fma_f64 v[20:21], v[107:108], s[94:95], -v[20:21]
	v_add_f64 v[14:15], v[14:15], v[34:35]
	v_add_f64 v[12:13], v[12:13], v[48:49]
	v_add_f64 v[26:27], v[20:21], v[42:43]
	v_fma_f64 v[20:21], v[105:106], s[90:91], -v[22:23]
	v_fma_f64 v[22:23], v[105:106], s[90:91], v[22:23]
	v_add_f64 v[24:25], v[20:21], v[50:51]
	v_fma_f64 v[20:21], v[107:108], s[90:91], v[28:29]
	v_fma_f64 v[28:29], v[107:108], s[90:91], -v[28:29]
	v_add_f64 v[22:23], v[22:23], v[46:47]
	v_add_f64 v[20:21], v[20:21], v[56:57]
	;; [unrolled: 8-line block ×4, first 2 shown]
	v_add_f64 v[70:71], v[44:45], v[70:71]
	v_mul_f64 v[44:45], v[111:112], s[22:23]
	v_add_f64 v[80:81], v[4:5], v[8:9]
	v_fma_f64 v[46:47], v[105:106], s[70:71], -v[44:45]
	v_fma_f64 v[44:45], v[105:106], s[70:71], v[44:45]
	v_add_f64 v[68:69], v[46:47], v[78:79]
	v_mul_f64 v[46:47], v[109:110], s[22:23]
	v_add_f64 v[62:63], v[44:45], v[82:83]
	v_mul_f64 v[78:79], v[109:110], s[12:13]
	v_add_f64 v[82:83], v[4:5], -v[8:9]
	v_fma_f64 v[44:45], v[107:108], s[70:71], -v[46:47]
	v_fma_f64 v[48:49], v[107:108], s[70:71], v[46:47]
	v_add_f64 v[66:67], v[44:45], v[87:88]
	v_mul_f64 v[44:45], v[111:112], s[16:17]
	v_add_f64 v[60:61], v[48:49], v[84:85]
	v_add_f64 v[84:85], v[6:7], -v[10:11]
	v_fma_f64 v[46:47], v[105:106], s[10:11], -v[44:45]
	v_fma_f64 v[44:45], v[105:106], s[10:11], v[44:45]
	v_mul_f64 v[4:5], v[84:85], s[22:23]
	v_add_f64 v[58:59], v[46:47], v[89:90]
	v_mul_f64 v[46:47], v[109:110], s[16:17]
	v_add_f64 v[54:55], v[44:45], v[91:92]
	v_fma_f64 v[44:45], v[107:108], s[10:11], -v[46:47]
	v_fma_f64 v[48:49], v[107:108], s[10:11], v[46:47]
	v_add_f64 v[52:53], v[44:45], v[95:96]
	v_mul_f64 v[44:45], v[111:112], s[12:13]
	v_add_f64 v[56:57], v[48:49], v[93:94]
	s_mov_b32 s12, 0x4363dd80
	s_mov_b32 s13, 0xbfe0d888
	v_fma_f64 v[46:47], v[105:106], vcc, -v[44:45]
	v_fma_f64 v[44:45], v[105:106], vcc, v[44:45]
	v_add_f64 v[50:51], v[46:47], v[97:98]
	v_fma_f64 v[46:47], v[107:108], vcc, v[78:79]
	v_add_f64 v[48:49], v[46:47], v[99:100]
	v_add_f64 v[46:47], v[44:45], v[101:102]
	v_fma_f64 v[44:45], v[107:108], vcc, -v[78:79]
	v_add_f64 v[78:79], v[6:7], v[10:11]
	v_fma_f64 v[6:7], v[80:81], s[70:71], -v[4:5]
	v_fma_f64 v[4:5], v[80:81], s[70:71], v[4:5]
	v_add_f64 v[44:45], v[44:45], v[103:104]
	v_add_f64 v[8:9], v[6:7], v[76:77]
	v_mul_f64 v[6:7], v[82:83], s[22:23]
	v_add_f64 v[4:5], v[4:5], v[72:73]
	v_mul_f64 v[72:73], v[84:85], s[88:89]
	v_fma_f64 v[10:11], v[78:79], s[70:71], v[6:7]
	v_fma_f64 v[6:7], v[78:79], s[70:71], -v[6:7]
	v_add_f64 v[10:11], v[10:11], v[18:19]
	v_add_f64 v[6:7], v[6:7], v[74:75]
	v_fma_f64 v[18:19], v[80:81], s[4:5], -v[72:73]
	v_mul_f64 v[74:75], v[82:83], s[88:89]
	v_add_f64 v[16:17], v[18:19], v[16:17]
	v_fma_f64 v[18:19], v[78:79], s[4:5], v[74:75]
	v_add_f64 v[18:19], v[18:19], v[12:13]
	v_fma_f64 v[12:13], v[80:81], s[4:5], v[72:73]
	v_mul_f64 v[72:73], v[84:85], s[12:13]
	v_add_f64 v[12:13], v[12:13], v[14:15]
	v_fma_f64 v[14:15], v[78:79], s[4:5], -v[74:75]
	v_mul_f64 v[74:75], v[82:83], s[12:13]
	s_mov_b32 s12, 0x6c9a05f6
	s_mov_b32 s13, 0xbfe9895b
	v_add_f64 v[14:15], v[14:15], v[26:27]
	v_fma_f64 v[26:27], v[80:81], s[2:3], -v[72:73]
	v_add_f64 v[24:25], v[26:27], v[24:25]
	v_fma_f64 v[26:27], v[78:79], s[2:3], v[74:75]
	v_add_f64 v[26:27], v[26:27], v[20:21]
	v_fma_f64 v[20:21], v[80:81], s[2:3], v[72:73]
	v_mul_f64 v[72:73], v[84:85], s[16:17]
	v_add_f64 v[20:21], v[20:21], v[22:23]
	v_fma_f64 v[22:23], v[78:79], s[2:3], -v[74:75]
	v_mul_f64 v[74:75], v[82:83], s[16:17]
	v_add_f64 v[22:23], v[22:23], v[34:35]
	v_fma_f64 v[34:35], v[80:81], s[10:11], -v[72:73]
	v_add_f64 v[32:33], v[34:35], v[32:33]
	v_fma_f64 v[34:35], v[78:79], s[10:11], v[74:75]
	v_add_f64 v[34:35], v[34:35], v[28:29]
	v_fma_f64 v[28:29], v[80:81], s[10:11], v[72:73]
	v_mul_f64 v[72:73], v[84:85], s[12:13]
	v_add_f64 v[28:29], v[28:29], v[30:31]
	v_fma_f64 v[30:31], v[78:79], s[10:11], -v[74:75]
	v_mul_f64 v[74:75], v[82:83], s[12:13]
	s_mov_b32 s12, 0x923c349f
	s_mov_b32 s13, 0xbfeec746
	v_add_f64 v[30:31], v[30:31], v[42:43]
	v_fma_f64 v[42:43], v[80:81], s[6:7], -v[72:73]
	v_add_f64 v[40:41], v[42:43], v[40:41]
	v_fma_f64 v[42:43], v[78:79], s[6:7], v[74:75]
	v_add_f64 v[42:43], v[42:43], v[36:37]
	v_fma_f64 v[36:37], v[80:81], s[6:7], v[72:73]
	v_mul_f64 v[72:73], v[84:85], s[96:97]
	v_add_f64 v[36:37], v[36:37], v[38:39]
	v_fma_f64 v[38:39], v[78:79], s[6:7], -v[74:75]
	v_mul_f64 v[74:75], v[82:83], s[96:97]
	v_add_f64 v[38:39], v[38:39], v[70:71]
	v_fma_f64 v[70:71], v[80:81], s[94:95], -v[72:73]
	v_add_f64 v[68:69], v[70:71], v[68:69]
	v_fma_f64 v[70:71], v[78:79], s[94:95], v[74:75]
	v_add_f64 v[70:71], v[70:71], v[60:61]
	v_fma_f64 v[60:61], v[80:81], s[94:95], v[72:73]
	v_add_f64 v[60:61], v[60:61], v[62:63]
	v_fma_f64 v[62:63], v[78:79], s[94:95], -v[74:75]
	v_add_f64 v[62:63], v[62:63], v[66:67]
	v_mul_f64 v[66:67], v[84:85], s[12:13]
	v_fma_f64 v[72:73], v[80:81], vcc, -v[66:67]
	v_add_f64 v[72:73], v[72:73], v[58:59]
	v_mul_f64 v[58:59], v[82:83], s[12:13]
	v_fma_f64 v[74:75], v[78:79], vcc, v[58:59]
	v_add_f64 v[74:75], v[74:75], v[56:57]
	v_fma_f64 v[56:57], v[80:81], vcc, v[66:67]
	v_mul_f64 v[66:67], v[82:83], s[68:69]
	v_add_f64 v[54:55], v[56:57], v[54:55]
	v_fma_f64 v[56:57], v[78:79], vcc, -v[58:59]
	v_mul_f64 v[58:59], v[84:85], s[68:69]
	v_add_f64 v[56:57], v[56:57], v[52:53]
	v_fma_f64 v[52:53], v[80:81], s[90:91], -v[58:59]
	v_add_f64 v[50:51], v[52:53], v[50:51]
	v_fma_f64 v[52:53], v[78:79], s[90:91], v[66:67]
	v_add_f64 v[52:53], v[52:53], v[48:49]
	v_fma_f64 v[48:49], v[80:81], s[90:91], v[58:59]
	v_add_f64 v[46:47], v[48:49], v[46:47]
	v_fma_f64 v[48:49], v[78:79], s[90:91], -v[66:67]
	v_add_f64 v[48:49], v[48:49], v[44:45]
	ds_write_b128 v86, v[0:3]
	ds_write_b128 v86, v[8:11] offset:16
	ds_write_b128 v86, v[16:19] offset:32
	ds_write_b128 v86, v[24:27] offset:48
	ds_write_b128 v86, v[32:35] offset:64
	ds_write_b128 v86, v[40:43] offset:80
	ds_write_b128 v86, v[68:71] offset:96
	ds_write_b128 v86, v[72:75] offset:112
	ds_write_b128 v86, v[50:53] offset:128
	ds_write_b128 v86, v[46:49] offset:144
	ds_write_b128 v86, v[54:57] offset:160
	ds_write_b128 v86, v[60:63] offset:176
	ds_write_b128 v86, v[36:39] offset:192
	ds_write_b128 v86, v[28:31] offset:208
	ds_write_b128 v86, v[20:23] offset:224
	ds_write_b128 v86, v[12:15] offset:240
	ds_write_b128 v86, v[4:7] offset:256
	s_waitcnt lgkmcnt(0)
	s_barrier
	buffer_gl0_inv
	ds_read_b128 v[0:3], v86
	ds_read_b128 v[4:7], v86 offset:16
	ds_read_b128 v[8:11], v86 offset:32
	;; [unrolled: 1-line block ×3, first 2 shown]
	s_waitcnt lgkmcnt(3)
	v_mul_f64 v[16:17], v[2:3], s[78:79]
	v_fma_f64 v[16:17], v[0:1], s[76:77], -v[16:17]
	v_mul_f64 v[0:1], v[0:1], s[78:79]
	v_fma_f64 v[18:19], v[2:3], s[76:77], v[0:1]
	s_waitcnt lgkmcnt(2)
	v_mul_f64 v[0:1], v[6:7], s[82:83]
	v_mul_f64 v[2:3], v[4:5], s[82:83]
	ds_write_b128 v86, v[16:19]
	v_fma_f64 v[0:1], v[4:5], s[80:81], -v[0:1]
	v_fma_f64 v[2:3], v[6:7], s[80:81], v[2:3]
	ds_write_b128 v86, v[0:3] offset:16
	s_waitcnt lgkmcnt(3)
	v_mul_f64 v[0:1], v[10:11], s[86:87]
	v_mul_f64 v[2:3], v[8:9], s[86:87]
	v_fma_f64 v[0:1], v[8:9], s[84:85], -v[0:1]
	v_fma_f64 v[2:3], v[10:11], s[84:85], v[2:3]
	s_load_dwordx16 s[72:87], s[26:27], 0x140
	ds_write_b128 v86, v[0:3] offset:32
	s_waitcnt lgkmcnt(0)
	v_mul_f64 v[0:1], v[14:15], s[74:75]
	v_mul_f64 v[2:3], v[12:13], s[74:75]
	v_fma_f64 v[0:1], v[12:13], s[72:73], -v[0:1]
	v_fma_f64 v[2:3], v[14:15], s[72:73], v[2:3]
	ds_write_b128 v86, v[0:3] offset:48
	ds_read_b128 v[0:3], v86 offset:64
	s_waitcnt lgkmcnt(0)
	v_mul_f64 v[4:5], v[2:3], s[78:79]
	v_fma_f64 v[4:5], v[0:1], s[76:77], -v[4:5]
	v_mul_f64 v[0:1], v[0:1], s[78:79]
	v_fma_f64 v[6:7], v[2:3], s[76:77], v[0:1]
	ds_read_b128 v[0:3], v86 offset:80
	ds_write_b128 v86, v[4:7] offset:64
	s_waitcnt lgkmcnt(1)
	v_mul_f64 v[4:5], v[2:3], s[82:83]
	v_fma_f64 v[4:5], v[0:1], s[80:81], -v[4:5]
	v_mul_f64 v[0:1], v[0:1], s[82:83]
	v_fma_f64 v[6:7], v[2:3], s[80:81], v[0:1]
	ds_read_b128 v[0:3], v86 offset:96
	ds_write_b128 v86, v[4:7] offset:80
	s_waitcnt lgkmcnt(1)
	v_mul_f64 v[4:5], v[2:3], s[86:87]
	v_fma_f64 v[4:5], v[0:1], s[84:85], -v[4:5]
	v_mul_f64 v[0:1], v[0:1], s[86:87]
	v_fma_f64 v[6:7], v[2:3], s[84:85], v[0:1]
	ds_read_b128 v[0:3], v86 offset:112
	s_load_dwordx16 s[72:87], s[26:27], 0x180
	ds_write_b128 v86, v[4:7] offset:96
	s_waitcnt lgkmcnt(0)
	v_mul_f64 v[4:5], v[2:3], s[74:75]
	v_fma_f64 v[4:5], v[0:1], s[72:73], -v[4:5]
	v_mul_f64 v[0:1], v[0:1], s[74:75]
	v_fma_f64 v[6:7], v[2:3], s[72:73], v[0:1]
	ds_read_b128 v[0:3], v86 offset:128
	ds_write_b128 v86, v[4:7] offset:112
	s_waitcnt lgkmcnt(1)
	v_mul_f64 v[4:5], v[2:3], s[78:79]
	v_fma_f64 v[4:5], v[0:1], s[76:77], -v[4:5]
	v_mul_f64 v[0:1], v[0:1], s[78:79]
	v_fma_f64 v[6:7], v[2:3], s[76:77], v[0:1]
	ds_read_b128 v[0:3], v86 offset:144
	;; [unrolled: 7-line block ×4, first 2 shown]
	s_load_dwordx16 s[72:87], s[26:27], 0x1c0
	ds_write_b128 v86, v[4:7] offset:160
	s_waitcnt lgkmcnt(0)
	v_mul_f64 v[4:5], v[2:3], s[74:75]
	v_fma_f64 v[4:5], v[0:1], s[72:73], -v[4:5]
	v_mul_f64 v[0:1], v[0:1], s[74:75]
	v_fma_f64 v[6:7], v[2:3], s[72:73], v[0:1]
	ds_read_b128 v[0:3], v86 offset:192
	ds_write_b128 v86, v[4:7] offset:176
	s_waitcnt lgkmcnt(1)
	v_mul_f64 v[4:5], v[2:3], s[78:79]
	v_fma_f64 v[4:5], v[0:1], s[76:77], -v[4:5]
	v_mul_f64 v[0:1], v[0:1], s[78:79]
	v_fma_f64 v[6:7], v[2:3], s[76:77], v[0:1]
	ds_read_b128 v[0:3], v86 offset:208
	s_load_dwordx8 s[72:79], s[26:27], 0x200
	ds_write_b128 v86, v[4:7] offset:192
	s_waitcnt lgkmcnt(0)
	v_mul_f64 v[4:5], v[2:3], s[82:83]
	v_fma_f64 v[4:5], v[0:1], s[80:81], -v[4:5]
	v_mul_f64 v[0:1], v[0:1], s[82:83]
	v_fma_f64 v[6:7], v[2:3], s[80:81], v[0:1]
	ds_read_b128 v[0:3], v86 offset:224
	ds_write_b128 v86, v[4:7] offset:208
	s_waitcnt lgkmcnt(1)
	v_mul_f64 v[4:5], v[2:3], s[86:87]
	v_fma_f64 v[4:5], v[0:1], s[84:85], -v[4:5]
	v_mul_f64 v[0:1], v[0:1], s[86:87]
	v_fma_f64 v[6:7], v[2:3], s[84:85], v[0:1]
	ds_read_b128 v[0:3], v86 offset:240
	;; [unrolled: 7-line block ×3, first 2 shown]
	s_mov_b32 s72, 0x7c9e640b
	s_mov_b32 s73, 0xbfeca52d
	ds_write_b128 v86, v[4:7] offset:240
	s_waitcnt lgkmcnt(1)
	v_mul_f64 v[4:5], v[2:3], s[78:79]
	v_fma_f64 v[4:5], v[0:1], s[76:77], -v[4:5]
	v_mul_f64 v[0:1], v[0:1], s[78:79]
	v_fma_f64 v[6:7], v[2:3], s[76:77], v[0:1]
	ds_write_b128 v86, v[4:7] offset:256
	s_waitcnt lgkmcnt(0)
	s_barrier
	buffer_gl0_inv
	ds_read_b128 v[60:63], v86
	ds_read_b128 v[66:69], v86 offset:16
	ds_read_b128 v[52:55], v86 offset:32
	;; [unrolled: 1-line block ×16, first 2 shown]
	s_waitcnt lgkmcnt(15)
	v_add_f64 v[0:1], v[60:61], v[66:67]
	v_add_f64 v[2:3], v[62:63], v[68:69]
	s_waitcnt lgkmcnt(0)
	v_add_f64 v[76:77], v[68:69], v[72:73]
	v_add_f64 v[74:75], v[66:67], v[70:71]
	v_add_f64 v[66:67], v[66:67], -v[70:71]
	v_add_f64 v[68:69], v[68:69], -v[72:73]
	v_add_f64 v[0:1], v[0:1], v[52:53]
	v_add_f64 v[2:3], v[2:3], v[54:55]
	v_mul_f64 v[87:88], v[76:77], s[10:11]
	v_mul_f64 v[95:96], v[76:77], s[94:95]
	;; [unrolled: 1-line block ×7, first 2 shown]
	v_add_f64 v[0:1], v[0:1], v[44:45]
	v_add_f64 v[2:3], v[2:3], v[46:47]
	v_mul_f64 v[103:104], v[76:77], s[90:91]
	v_mul_f64 v[111:112], v[76:77], vcc
	v_mul_f64 v[119:120], v[76:77], s[6:7]
	v_mul_f64 v[127:128], v[76:77], s[2:3]
	;; [unrolled: 1-line block ×3, first 2 shown]
	v_fma_f64 v[89:90], v[66:67], s[16:17], v[87:88]
	v_fma_f64 v[87:88], v[66:67], s[14:15], v[87:88]
	s_mov_b32 s14, 0x7c9e640b
	s_mov_b32 s15, 0xbfeca52d
	v_fma_f64 v[97:98], v[66:67], s[96:97], v[95:96]
	v_mul_f64 v[91:92], v[68:69], s[14:15]
	v_fma_f64 v[95:96], v[66:67], s[14:15], v[95:96]
	v_add_f64 v[0:1], v[0:1], v[36:37]
	v_add_f64 v[2:3], v[2:3], v[38:39]
	s_mov_b32 s14, 0xeb564b22
	s_mov_b32 s15, 0xbfefdd0d
	v_fma_f64 v[84:85], v[74:75], s[10:11], v[82:83]
	v_mul_f64 v[99:100], v[68:69], s[14:15]
	v_fma_f64 v[82:83], v[74:75], s[10:11], -v[82:83]
	v_fma_f64 v[109:110], v[74:75], vcc, v[107:108]
	v_fma_f64 v[107:108], v[74:75], vcc, -v[107:108]
	v_fma_f64 v[117:118], v[74:75], s[6:7], v[115:116]
	v_fma_f64 v[115:116], v[74:75], s[6:7], -v[115:116]
	v_fma_f64 v[125:126], v[74:75], s[2:3], v[123:124]
	v_fma_f64 v[123:124], v[74:75], s[2:3], -v[123:124]
	v_fma_f64 v[80:81], v[66:67], s[88:89], v[78:79]
	v_fma_f64 v[78:79], v[66:67], s[20:21], v[78:79]
	;; [unrolled: 1-line block ×8, first 2 shown]
	v_fma_f64 v[91:92], v[74:75], s[94:95], -v[91:92]
	v_add_f64 v[0:1], v[0:1], v[28:29]
	v_add_f64 v[2:3], v[2:3], v[30:31]
	v_fma_f64 v[119:120], v[66:67], s[8:9], v[119:120]
	v_fma_f64 v[129:130], v[66:67], s[18:19], v[127:128]
	v_add_f64 v[84:85], v[60:61], v[84:85]
	v_fma_f64 v[101:102], v[74:75], s[90:91], v[99:100]
	v_fma_f64 v[99:100], v[74:75], s[90:91], -v[99:100]
	v_add_f64 v[82:83], v[60:61], v[82:83]
	v_add_f64 v[109:110], v[60:61], v[109:110]
	;; [unrolled: 1-line block ×7, first 2 shown]
	v_fma_f64 v[127:128], v[66:67], s[92:93], v[127:128]
	v_fma_f64 v[133:134], v[66:67], s[24:25], v[76:77]
	;; [unrolled: 1-line block ×3, first 2 shown]
	v_add_f64 v[80:81], v[62:63], v[80:81]
	v_add_f64 v[78:79], v[62:63], v[78:79]
	;; [unrolled: 1-line block ×23, first 2 shown]
	v_add_f64 v[52:53], v[52:53], -v[56:57]
	v_add_f64 v[0:1], v[0:1], v[12:13]
	v_add_f64 v[2:3], v[2:3], v[14:15]
	;; [unrolled: 1-line block ×19, first 2 shown]
	v_mul_f64 v[70:71], v[68:69], s[20:21]
	v_mul_f64 v[68:69], v[68:69], s[22:23]
	v_add_f64 v[2:3], v[2:3], v[72:73]
	v_fma_f64 v[72:73], v[74:75], s[4:5], v[70:71]
	v_fma_f64 v[70:71], v[74:75], s[4:5], -v[70:71]
	v_fma_f64 v[131:132], v[74:75], s[70:71], v[68:69]
	v_fma_f64 v[68:69], v[74:75], s[70:71], -v[68:69]
	v_add_f64 v[72:73], v[60:61], v[72:73]
	v_add_f64 v[70:71], v[60:61], v[70:71]
	;; [unrolled: 1-line block ×5, first 2 shown]
	v_add_f64 v[54:55], v[54:55], -v[58:59]
	v_mul_f64 v[56:57], v[54:55], s[34:35]
	v_fma_f64 v[58:59], v[66:67], s[10:11], v[56:57]
	v_fma_f64 v[56:57], v[66:67], s[10:11], -v[56:57]
	v_add_f64 v[58:59], v[58:59], v[72:73]
	v_mul_f64 v[72:73], v[68:69], s[10:11]
	v_add_f64 v[56:57], v[56:57], v[70:71]
	v_fma_f64 v[74:75], v[52:53], s[16:17], v[72:73]
	v_fma_f64 v[70:71], v[52:53], s[34:35], v[72:73]
	v_mul_f64 v[72:73], v[54:55], s[14:15]
	v_add_f64 v[74:75], v[74:75], v[80:81]
	v_add_f64 v[70:71], v[70:71], v[78:79]
	v_fma_f64 v[76:77], v[66:67], s[90:91], v[72:73]
	v_mul_f64 v[78:79], v[68:69], s[90:91]
	v_fma_f64 v[72:73], v[66:67], s[90:91], -v[72:73]
	v_add_f64 v[76:77], v[76:77], v[84:85]
	v_fma_f64 v[80:81], v[52:53], s[68:69], v[78:79]
	v_add_f64 v[72:73], v[72:73], v[82:83]
	v_fma_f64 v[78:79], v[52:53], s[14:15], v[78:79]
	v_mul_f64 v[82:83], v[54:55], s[8:9]
	v_add_f64 v[80:81], v[80:81], v[89:90]
	v_add_f64 v[78:79], v[78:79], v[87:88]
	v_fma_f64 v[84:85], v[66:67], s[6:7], v[82:83]
	v_mul_f64 v[87:88], v[68:69], s[6:7]
	v_fma_f64 v[82:83], v[66:67], s[6:7], -v[82:83]
	v_add_f64 v[84:85], v[84:85], v[93:94]
	v_fma_f64 v[89:90], v[52:53], s[98:99], v[87:88]
	v_add_f64 v[82:83], v[82:83], v[91:92]
	;; [unrolled: 10-line block ×4, first 2 shown]
	v_fma_f64 v[103:104], v[52:53], s[18:19], v[103:104]
	v_mul_f64 v[107:108], v[54:55], s[0:1]
	v_add_f64 v[105:106], v[105:106], v[113:114]
	v_add_f64 v[103:104], v[103:104], v[111:112]
	v_fma_f64 v[109:110], v[66:67], vcc, v[107:108]
	v_mul_f64 v[111:112], v[68:69], vcc
	v_fma_f64 v[107:108], v[66:67], vcc, -v[107:108]
	v_add_f64 v[109:110], v[109:110], v[117:118]
	v_fma_f64 v[113:114], v[52:53], s[12:13], v[111:112]
	v_add_f64 v[107:108], v[107:108], v[115:116]
	v_fma_f64 v[111:112], v[52:53], s[0:1], v[111:112]
	v_mul_f64 v[115:116], v[54:55], s[96:97]
	v_mul_f64 v[54:55], v[54:55], s[88:89]
	v_add_f64 v[113:114], v[113:114], v[121:122]
	v_add_f64 v[111:112], v[111:112], v[119:120]
	v_fma_f64 v[117:118], v[66:67], s[94:95], v[115:116]
	v_mul_f64 v[119:120], v[68:69], s[94:95]
	v_mul_f64 v[68:69], v[68:69], s[4:5]
	v_fma_f64 v[115:116], v[66:67], s[94:95], -v[115:116]
	v_add_f64 v[117:118], v[117:118], v[125:126]
	v_fma_f64 v[121:122], v[52:53], s[72:73], v[119:120]
	v_fma_f64 v[119:120], v[52:53], s[96:97], v[119:120]
	;; [unrolled: 1-line block ×4, first 2 shown]
	v_add_f64 v[115:116], v[115:116], v[123:124]
	v_fma_f64 v[123:124], v[66:67], s[4:5], v[54:55]
	v_fma_f64 v[54:55], v[66:67], s[4:5], -v[54:55]
	v_add_f64 v[121:122], v[121:122], v[129:130]
	v_add_f64 v[119:120], v[119:120], v[127:128]
	;; [unrolled: 1-line block ×5, first 2 shown]
	v_add_f64 v[46:47], v[46:47], -v[50:51]
	v_add_f64 v[54:55], v[54:55], v[60:61]
	v_add_f64 v[60:61], v[44:45], v[48:49]
	v_add_f64 v[44:45], v[44:45], -v[48:49]
	v_add_f64 v[123:124], v[123:124], v[131:132]
	v_mul_f64 v[48:49], v[46:47], s[72:73]
	v_fma_f64 v[50:51], v[60:61], s[94:95], v[48:49]
	v_fma_f64 v[48:49], v[60:61], s[94:95], -v[48:49]
	v_add_f64 v[50:51], v[50:51], v[58:59]
	v_mul_f64 v[58:59], v[62:63], s[94:95]
	v_add_f64 v[48:49], v[48:49], v[56:57]
	v_fma_f64 v[66:67], v[44:45], s[96:97], v[58:59]
	v_fma_f64 v[56:57], v[44:45], s[72:73], v[58:59]
	v_mul_f64 v[58:59], v[46:47], s[8:9]
	v_add_f64 v[66:67], v[66:67], v[74:75]
	v_add_f64 v[56:57], v[56:57], v[70:71]
	v_fma_f64 v[68:69], v[60:61], s[6:7], v[58:59]
	v_fma_f64 v[58:59], v[60:61], s[6:7], -v[58:59]
	v_mul_f64 v[70:71], v[62:63], s[6:7]
	v_add_f64 v[68:69], v[68:69], v[76:77]
	v_add_f64 v[58:59], v[58:59], v[72:73]
	v_mul_f64 v[72:73], v[46:47], s[24:25]
	v_fma_f64 v[74:75], v[44:45], s[98:99], v[70:71]
	v_fma_f64 v[70:71], v[44:45], s[8:9], v[70:71]
	;; [unrolled: 1-line block ×3, first 2 shown]
	v_fma_f64 v[72:73], v[60:61], s[70:71], -v[72:73]
	v_add_f64 v[70:71], v[70:71], v[78:79]
	v_mul_f64 v[78:79], v[62:63], s[70:71]
	v_add_f64 v[74:75], v[74:75], v[80:81]
	v_add_f64 v[76:77], v[76:77], v[84:85]
	;; [unrolled: 1-line block ×3, first 2 shown]
	v_mul_f64 v[82:83], v[46:47], s[0:1]
	v_fma_f64 v[80:81], v[44:45], s[22:23], v[78:79]
	v_fma_f64 v[78:79], v[44:45], s[24:25], v[78:79]
	v_fma_f64 v[84:85], v[60:61], vcc, v[82:83]
	v_fma_f64 v[82:83], v[60:61], vcc, -v[82:83]
	v_add_f64 v[78:79], v[78:79], v[87:88]
	v_mul_f64 v[87:88], v[62:63], vcc
	v_add_f64 v[80:81], v[80:81], v[89:90]
	v_add_f64 v[84:85], v[84:85], v[93:94]
	v_add_f64 v[82:83], v[82:83], v[91:92]
	v_mul_f64 v[91:92], v[46:47], s[16:17]
	v_fma_f64 v[89:90], v[44:45], s[12:13], v[87:88]
	v_fma_f64 v[87:88], v[44:45], s[0:1], v[87:88]
	;; [unrolled: 1-line block ×3, first 2 shown]
	v_fma_f64 v[91:92], v[60:61], s[10:11], -v[91:92]
	v_add_f64 v[87:88], v[87:88], v[95:96]
	v_mul_f64 v[95:96], v[62:63], s[10:11]
	v_add_f64 v[89:90], v[89:90], v[97:98]
	v_add_f64 v[93:94], v[93:94], v[101:102]
	;; [unrolled: 1-line block ×3, first 2 shown]
	v_mul_f64 v[99:100], v[46:47], s[20:21]
	v_fma_f64 v[97:98], v[44:45], s[34:35], v[95:96]
	v_fma_f64 v[95:96], v[44:45], s[16:17], v[95:96]
	;; [unrolled: 1-line block ×3, first 2 shown]
	v_fma_f64 v[99:100], v[60:61], s[4:5], -v[99:100]
	v_add_f64 v[95:96], v[95:96], v[103:104]
	v_mul_f64 v[103:104], v[62:63], s[4:5]
	v_add_f64 v[97:98], v[97:98], v[105:106]
	v_add_f64 v[101:102], v[101:102], v[109:110]
	;; [unrolled: 1-line block ×3, first 2 shown]
	v_mul_f64 v[107:108], v[46:47], s[14:15]
	v_fma_f64 v[105:106], v[44:45], s[88:89], v[103:104]
	v_fma_f64 v[103:104], v[44:45], s[20:21], v[103:104]
	v_mul_f64 v[46:47], v[46:47], s[92:93]
	v_fma_f64 v[109:110], v[60:61], s[90:91], v[107:108]
	v_fma_f64 v[107:108], v[60:61], s[90:91], -v[107:108]
	v_add_f64 v[103:104], v[103:104], v[111:112]
	v_mul_f64 v[111:112], v[62:63], s[90:91]
	v_mul_f64 v[62:63], v[62:63], s[2:3]
	v_add_f64 v[105:106], v[105:106], v[113:114]
	v_add_f64 v[109:110], v[109:110], v[117:118]
	;; [unrolled: 1-line block ×3, first 2 shown]
	v_fma_f64 v[115:116], v[60:61], s[2:3], v[46:47]
	v_fma_f64 v[46:47], v[60:61], s[2:3], -v[46:47]
	v_fma_f64 v[113:114], v[44:45], s[68:69], v[111:112]
	v_fma_f64 v[111:112], v[44:45], s[14:15], v[111:112]
	;; [unrolled: 1-line block ×4, first 2 shown]
	v_add_f64 v[115:116], v[115:116], v[123:124]
	v_add_f64 v[46:47], v[46:47], v[54:55]
	;; [unrolled: 1-line block ×3, first 2 shown]
	v_add_f64 v[38:39], v[38:39], -v[42:43]
	v_add_f64 v[113:114], v[113:114], v[121:122]
	v_add_f64 v[44:45], v[44:45], v[52:53]
	;; [unrolled: 1-line block ×3, first 2 shown]
	v_add_f64 v[36:37], v[36:37], -v[40:41]
	v_add_f64 v[111:112], v[111:112], v[119:120]
	v_add_f64 v[117:118], v[117:118], v[125:126]
	v_mul_f64 v[62:63], v[54:55], s[70:71]
	v_mul_f64 v[40:41], v[38:39], s[14:15]
	v_fma_f64 v[42:43], v[52:53], s[90:91], v[40:41]
	v_fma_f64 v[40:41], v[52:53], s[90:91], -v[40:41]
	v_add_f64 v[42:43], v[42:43], v[50:51]
	v_mul_f64 v[50:51], v[54:55], s[90:91]
	v_add_f64 v[40:41], v[40:41], v[48:49]
	v_fma_f64 v[60:61], v[36:37], s[68:69], v[50:51]
	v_fma_f64 v[48:49], v[36:37], s[14:15], v[50:51]
	v_mul_f64 v[50:51], v[38:39], s[22:23]
	v_add_f64 v[60:61], v[60:61], v[66:67]
	v_add_f64 v[48:49], v[48:49], v[56:57]
	v_fma_f64 v[56:57], v[52:53], s[70:71], v[50:51]
	v_fma_f64 v[50:51], v[52:53], s[70:71], -v[50:51]
	v_fma_f64 v[66:67], v[36:37], s[24:25], v[62:63]
	v_add_f64 v[56:57], v[56:57], v[68:69]
	v_add_f64 v[50:51], v[50:51], v[58:59]
	v_fma_f64 v[58:59], v[36:37], s[22:23], v[62:63]
	v_mul_f64 v[62:63], v[38:39], s[0:1]
	v_add_f64 v[66:67], v[66:67], v[74:75]
	v_add_f64 v[58:59], v[58:59], v[70:71]
	v_fma_f64 v[68:69], v[52:53], vcc, v[62:63]
	v_fma_f64 v[62:63], v[52:53], vcc, -v[62:63]
	v_mul_f64 v[70:71], v[54:55], vcc
	v_add_f64 v[68:69], v[68:69], v[76:77]
	v_add_f64 v[62:63], v[62:63], v[72:73]
	v_mul_f64 v[72:73], v[38:39], s[88:89]
	v_fma_f64 v[74:75], v[36:37], s[12:13], v[70:71]
	v_fma_f64 v[70:71], v[36:37], s[0:1], v[70:71]
	v_fma_f64 v[76:77], v[52:53], s[4:5], v[72:73]
	v_fma_f64 v[72:73], v[52:53], s[4:5], -v[72:73]
	v_add_f64 v[70:71], v[70:71], v[78:79]
	v_mul_f64 v[78:79], v[54:55], s[4:5]
	v_add_f64 v[74:75], v[74:75], v[80:81]
	v_add_f64 v[76:77], v[76:77], v[84:85]
	v_add_f64 v[72:73], v[72:73], v[82:83]
	v_mul_f64 v[82:83], v[38:39], s[72:73]
	v_fma_f64 v[80:81], v[36:37], s[20:21], v[78:79]
	v_fma_f64 v[78:79], v[36:37], s[88:89], v[78:79]
	v_fma_f64 v[84:85], v[52:53], s[94:95], v[82:83]
	v_fma_f64 v[82:83], v[52:53], s[94:95], -v[82:83]
	v_add_f64 v[78:79], v[78:79], v[87:88]
	v_mul_f64 v[87:88], v[54:55], s[94:95]
	v_add_f64 v[80:81], v[80:81], v[89:90]
	;; [unrolled: 10-line block ×3, first 2 shown]
	v_add_f64 v[93:94], v[93:94], v[101:102]
	v_add_f64 v[91:92], v[91:92], v[99:100]
	v_mul_f64 v[99:100], v[38:39], s[98:99]
	v_fma_f64 v[97:98], v[36:37], s[18:19], v[95:96]
	v_fma_f64 v[95:96], v[36:37], s[92:93], v[95:96]
	v_mul_f64 v[38:39], v[38:39], s[16:17]
	v_fma_f64 v[101:102], v[52:53], s[6:7], v[99:100]
	v_fma_f64 v[99:100], v[52:53], s[6:7], -v[99:100]
	v_add_f64 v[95:96], v[95:96], v[103:104]
	v_mul_f64 v[103:104], v[54:55], s[6:7]
	v_mul_f64 v[54:55], v[54:55], s[10:11]
	v_add_f64 v[97:98], v[97:98], v[105:106]
	v_add_f64 v[101:102], v[101:102], v[109:110]
	;; [unrolled: 1-line block ×3, first 2 shown]
	v_fma_f64 v[107:108], v[52:53], s[10:11], v[38:39]
	v_fma_f64 v[38:39], v[52:53], s[10:11], -v[38:39]
	v_fma_f64 v[105:106], v[36:37], s[8:9], v[103:104]
	v_fma_f64 v[103:104], v[36:37], s[98:99], v[103:104]
	;; [unrolled: 1-line block ×4, first 2 shown]
	v_add_f64 v[107:108], v[107:108], v[115:116]
	v_add_f64 v[38:39], v[38:39], v[46:47]
	;; [unrolled: 1-line block ×3, first 2 shown]
	v_add_f64 v[30:31], v[30:31], -v[34:35]
	v_add_f64 v[105:106], v[105:106], v[113:114]
	v_add_f64 v[36:37], v[36:37], v[44:45]
	v_add_f64 v[44:45], v[28:29], v[32:33]
	v_add_f64 v[28:29], v[28:29], -v[32:33]
	v_add_f64 v[103:104], v[103:104], v[111:112]
	v_add_f64 v[109:110], v[109:110], v[117:118]
	v_mul_f64 v[54:55], v[46:47], s[2:3]
	v_mul_f64 v[32:33], v[30:31], s[12:13]
	v_fma_f64 v[34:35], v[44:45], vcc, v[32:33]
	v_fma_f64 v[32:33], v[44:45], vcc, -v[32:33]
	v_add_f64 v[34:35], v[34:35], v[42:43]
	v_mul_f64 v[42:43], v[46:47], vcc
	v_add_f64 v[32:33], v[32:33], v[40:41]
	v_fma_f64 v[52:53], v[28:29], s[0:1], v[42:43]
	v_fma_f64 v[40:41], v[28:29], s[12:13], v[42:43]
	v_mul_f64 v[42:43], v[30:31], s[18:19]
	v_add_f64 v[52:53], v[52:53], v[60:61]
	v_add_f64 v[40:41], v[40:41], v[48:49]
	v_fma_f64 v[48:49], v[44:45], s[2:3], v[42:43]
	v_fma_f64 v[42:43], v[44:45], s[2:3], -v[42:43]
	v_mul_f64 v[60:61], v[46:47], s[10:11]
	v_add_f64 v[48:49], v[48:49], v[56:57]
	v_fma_f64 v[56:57], v[28:29], s[92:93], v[54:55]
	v_add_f64 v[42:43], v[42:43], v[50:51]
	v_fma_f64 v[50:51], v[28:29], s[18:19], v[54:55]
	v_mul_f64 v[54:55], v[30:31], s[16:17]
	v_add_f64 v[56:57], v[56:57], v[66:67]
	v_fma_f64 v[66:67], v[28:29], s[34:35], v[60:61]
	v_add_f64 v[50:51], v[50:51], v[58:59]
	v_fma_f64 v[58:59], v[44:45], s[10:11], v[54:55]
	v_fma_f64 v[54:55], v[44:45], s[10:11], -v[54:55]
	v_fma_f64 v[60:61], v[28:29], s[16:17], v[60:61]
	v_add_f64 v[66:67], v[66:67], v[74:75]
	v_add_f64 v[58:59], v[58:59], v[68:69]
	;; [unrolled: 1-line block ×3, first 2 shown]
	v_mul_f64 v[62:63], v[30:31], s[72:73]
	v_add_f64 v[60:61], v[60:61], v[70:71]
	v_mul_f64 v[70:71], v[46:47], s[94:95]
	v_fma_f64 v[68:69], v[44:45], s[94:95], v[62:63]
	v_fma_f64 v[62:63], v[44:45], s[94:95], -v[62:63]
	v_fma_f64 v[74:75], v[28:29], s[96:97], v[70:71]
	v_fma_f64 v[70:71], v[28:29], s[72:73], v[70:71]
	v_add_f64 v[68:69], v[68:69], v[76:77]
	v_add_f64 v[62:63], v[62:63], v[72:73]
	v_mul_f64 v[72:73], v[30:31], s[22:23]
	v_add_f64 v[70:71], v[70:71], v[78:79]
	v_mul_f64 v[78:79], v[46:47], s[70:71]
	v_add_f64 v[74:75], v[74:75], v[80:81]
	v_fma_f64 v[76:77], v[44:45], s[70:71], v[72:73]
	v_fma_f64 v[72:73], v[44:45], s[70:71], -v[72:73]
	v_fma_f64 v[80:81], v[28:29], s[24:25], v[78:79]
	v_fma_f64 v[78:79], v[28:29], s[22:23], v[78:79]
	v_add_f64 v[76:77], v[76:77], v[84:85]
	v_add_f64 v[72:73], v[72:73], v[82:83]
	v_mul_f64 v[82:83], v[30:31], s[68:69]
	v_add_f64 v[78:79], v[78:79], v[87:88]
	v_mul_f64 v[87:88], v[46:47], s[90:91]
	v_add_f64 v[80:81], v[80:81], v[89:90]
	v_fma_f64 v[84:85], v[44:45], s[90:91], v[82:83]
	v_fma_f64 v[82:83], v[44:45], s[90:91], -v[82:83]
	v_fma_f64 v[89:90], v[28:29], s[14:15], v[87:88]
	v_fma_f64 v[87:88], v[28:29], s[68:69], v[87:88]
	v_add_f64 v[84:85], v[84:85], v[93:94]
	v_add_f64 v[82:83], v[82:83], v[91:92]
	v_mul_f64 v[91:92], v[30:31], s[20:21]
	v_mul_f64 v[30:31], v[30:31], s[8:9]
	v_add_f64 v[87:88], v[87:88], v[95:96]
	v_mul_f64 v[95:96], v[46:47], s[4:5]
	v_mul_f64 v[46:47], v[46:47], s[6:7]
	v_add_f64 v[89:90], v[89:90], v[97:98]
	v_fma_f64 v[93:94], v[44:45], s[4:5], v[91:92]
	v_fma_f64 v[91:92], v[44:45], s[4:5], -v[91:92]
	v_fma_f64 v[97:98], v[28:29], s[88:89], v[95:96]
	v_fma_f64 v[95:96], v[28:29], s[20:21], v[95:96]
	v_add_f64 v[93:94], v[93:94], v[101:102]
	v_add_f64 v[91:92], v[91:92], v[99:100]
	v_fma_f64 v[99:100], v[44:45], s[6:7], v[30:31]
	v_fma_f64 v[30:31], v[44:45], s[6:7], -v[30:31]
	v_fma_f64 v[101:102], v[28:29], s[98:99], v[46:47]
	v_fma_f64 v[28:29], v[28:29], s[8:9], v[46:47]
	v_add_f64 v[97:98], v[97:98], v[105:106]
	v_add_f64 v[95:96], v[95:96], v[103:104]
	;; [unrolled: 1-line block ×5, first 2 shown]
	v_add_f64 v[22:23], v[22:23], -v[26:27]
	v_add_f64 v[28:29], v[28:29], v[36:37]
	v_add_f64 v[36:37], v[20:21], v[24:25]
	v_add_f64 v[20:21], v[20:21], -v[24:25]
	v_add_f64 v[101:102], v[101:102], v[109:110]
	v_mul_f64 v[46:47], v[38:39], vcc
	v_mul_f64 v[24:25], v[22:23], s[8:9]
	v_fma_f64 v[26:27], v[36:37], s[6:7], v[24:25]
	v_fma_f64 v[24:25], v[36:37], s[6:7], -v[24:25]
	v_add_f64 v[26:27], v[26:27], v[34:35]
	v_mul_f64 v[34:35], v[38:39], s[6:7]
	v_add_f64 v[24:25], v[24:25], v[32:33]
	v_fma_f64 v[44:45], v[20:21], s[98:99], v[34:35]
	v_fma_f64 v[32:33], v[20:21], s[8:9], v[34:35]
	v_mul_f64 v[34:35], v[22:23], s[0:1]
	v_add_f64 v[44:45], v[44:45], v[52:53]
	v_add_f64 v[32:33], v[32:33], v[40:41]
	v_fma_f64 v[40:41], v[36:37], vcc, v[34:35]
	v_fma_f64 v[34:35], v[36:37], vcc, -v[34:35]
	v_mul_f64 v[52:53], v[38:39], s[4:5]
	v_add_f64 v[40:41], v[40:41], v[48:49]
	v_fma_f64 v[48:49], v[20:21], s[12:13], v[46:47]
	v_add_f64 v[34:35], v[34:35], v[42:43]
	v_fma_f64 v[42:43], v[20:21], s[0:1], v[46:47]
	v_mul_f64 v[46:47], v[22:23], s[20:21]
	v_add_f64 v[48:49], v[48:49], v[56:57]
	v_fma_f64 v[56:57], v[20:21], s[88:89], v[52:53]
	v_add_f64 v[42:43], v[42:43], v[50:51]
	v_fma_f64 v[50:51], v[36:37], s[4:5], v[46:47]
	v_fma_f64 v[46:47], v[36:37], s[4:5], -v[46:47]
	v_fma_f64 v[52:53], v[20:21], s[20:21], v[52:53]
	v_add_f64 v[56:57], v[56:57], v[66:67]
	v_add_f64 v[50:51], v[50:51], v[58:59]
	;; [unrolled: 1-line block ×3, first 2 shown]
	v_mul_f64 v[54:55], v[22:23], s[92:93]
	v_add_f64 v[52:53], v[52:53], v[60:61]
	v_mul_f64 v[60:61], v[38:39], s[2:3]
	v_fma_f64 v[58:59], v[36:37], s[2:3], v[54:55]
	v_fma_f64 v[54:55], v[36:37], s[2:3], -v[54:55]
	v_fma_f64 v[66:67], v[20:21], s[18:19], v[60:61]
	v_fma_f64 v[60:61], v[20:21], s[92:93], v[60:61]
	v_add_f64 v[58:59], v[58:59], v[68:69]
	v_add_f64 v[54:55], v[54:55], v[62:63]
	v_mul_f64 v[62:63], v[22:23], s[68:69]
	v_add_f64 v[60:61], v[60:61], v[70:71]
	v_mul_f64 v[70:71], v[38:39], s[90:91]
	v_add_f64 v[66:67], v[66:67], v[74:75]
	v_fma_f64 v[68:69], v[36:37], s[90:91], v[62:63]
	v_fma_f64 v[62:63], v[36:37], s[90:91], -v[62:63]
	v_fma_f64 v[74:75], v[20:21], s[14:15], v[70:71]
	v_fma_f64 v[70:71], v[20:21], s[68:69], v[70:71]
	v_add_f64 v[68:69], v[68:69], v[76:77]
	v_add_f64 v[62:63], v[62:63], v[72:73]
	v_mul_f64 v[72:73], v[22:23], s[34:35]
	v_add_f64 v[70:71], v[70:71], v[78:79]
	v_mul_f64 v[78:79], v[38:39], s[10:11]
	v_add_f64 v[74:75], v[74:75], v[80:81]
	v_fma_f64 v[76:77], v[36:37], s[10:11], v[72:73]
	v_fma_f64 v[72:73], v[36:37], s[10:11], -v[72:73]
	v_fma_f64 v[80:81], v[20:21], s[16:17], v[78:79]
	v_fma_f64 v[78:79], v[20:21], s[34:35], v[78:79]
	v_add_f64 v[76:77], v[76:77], v[84:85]
	v_add_f64 v[72:73], v[72:73], v[82:83]
	v_mul_f64 v[82:83], v[22:23], s[22:23]
	v_mul_f64 v[22:23], v[22:23], s[96:97]
	v_add_f64 v[78:79], v[78:79], v[87:88]
	v_mul_f64 v[87:88], v[38:39], s[70:71]
	v_add_f64 v[80:81], v[80:81], v[89:90]
	v_mul_f64 v[38:39], v[38:39], s[94:95]
	v_fma_f64 v[84:85], v[36:37], s[70:71], v[82:83]
	v_fma_f64 v[82:83], v[36:37], s[70:71], -v[82:83]
	v_fma_f64 v[89:90], v[20:21], s[24:25], v[87:88]
	v_fma_f64 v[87:88], v[20:21], s[22:23], v[87:88]
	v_add_f64 v[84:85], v[84:85], v[93:94]
	v_add_f64 v[82:83], v[82:83], v[91:92]
	v_fma_f64 v[91:92], v[36:37], s[94:95], v[22:23]
	v_add_f64 v[89:90], v[89:90], v[97:98]
	v_fma_f64 v[22:23], v[36:37], s[94:95], -v[22:23]
	v_add_f64 v[97:98], v[12:13], v[16:17]
	v_add_f64 v[12:13], v[12:13], -v[16:17]
	v_add_f64 v[87:88], v[87:88], v[95:96]
	v_fma_f64 v[93:94], v[20:21], s[72:73], v[38:39]
	v_fma_f64 v[20:21], v[20:21], s[96:97], v[38:39]
	v_add_f64 v[91:92], v[91:92], v[99:100]
	v_add_f64 v[99:100], v[14:15], v[18:19]
	v_add_f64 v[14:15], v[14:15], -v[18:19]
	v_add_f64 v[95:96], v[22:23], v[30:31]
	v_add_f64 v[93:94], v[93:94], v[101:102]
	;; [unrolled: 1-line block ×3, first 2 shown]
	v_mul_f64 v[22:23], v[99:100], s[2:3]
	v_mul_f64 v[16:17], v[14:15], s[92:93]
	v_fma_f64 v[18:19], v[97:98], s[2:3], v[16:17]
	v_fma_f64 v[16:17], v[97:98], s[2:3], -v[16:17]
	v_add_f64 v[18:19], v[18:19], v[26:27]
	v_fma_f64 v[26:27], v[12:13], s[18:19], v[22:23]
	v_fma_f64 v[22:23], v[12:13], s[92:93], v[22:23]
	v_add_f64 v[16:17], v[16:17], v[24:25]
	v_add_f64 v[101:102], v[26:27], v[44:45]
	;; [unrolled: 1-line block ×3, first 2 shown]
	v_mul_f64 v[22:23], v[14:15], s[96:97]
	v_mul_f64 v[44:45], v[14:15], s[22:23]
	;; [unrolled: 1-line block ×3, first 2 shown]
	v_fma_f64 v[24:25], v[97:98], s[94:95], v[22:23]
	v_fma_f64 v[22:23], v[97:98], s[94:95], -v[22:23]
	v_fma_f64 v[28:29], v[97:98], s[6:7], v[32:33]
	v_fma_f64 v[32:33], v[97:98], s[6:7], -v[32:33]
	v_add_f64 v[105:106], v[24:25], v[40:41]
	v_mul_f64 v[24:25], v[99:100], s[94:95]
	v_add_f64 v[109:110], v[22:23], v[34:35]
	v_mul_f64 v[34:35], v[99:100], s[6:7]
	v_mul_f64 v[40:41], v[14:15], s[20:21]
	v_add_f64 v[28:29], v[28:29], v[58:59]
	v_add_f64 v[32:33], v[32:33], v[54:55]
	v_fma_f64 v[26:27], v[12:13], s[72:73], v[24:25]
	v_fma_f64 v[22:23], v[12:13], s[96:97], v[24:25]
	v_mul_f64 v[24:25], v[14:15], s[14:15]
	v_fma_f64 v[30:31], v[12:13], s[8:9], v[34:35]
	v_fma_f64 v[36:37], v[97:98], s[4:5], v[40:41]
	v_fma_f64 v[40:41], v[97:98], s[4:5], -v[40:41]
	v_fma_f64 v[34:35], v[12:13], s[98:99], v[34:35]
	v_add_f64 v[107:108], v[26:27], v[48:49]
	v_add_f64 v[111:112], v[22:23], v[42:43]
	v_fma_f64 v[22:23], v[97:98], s[90:91], v[24:25]
	v_fma_f64 v[24:25], v[97:98], s[90:91], -v[24:25]
	v_mul_f64 v[42:43], v[99:100], s[4:5]
	v_add_f64 v[30:31], v[30:31], v[66:67]
	v_add_f64 v[40:41], v[40:41], v[62:63]
	v_mul_f64 v[26:27], v[99:100], s[90:91]
	v_add_f64 v[36:37], v[36:37], v[68:69]
	v_add_f64 v[34:35], v[34:35], v[60:61]
	;; [unrolled: 1-line block ×4, first 2 shown]
	v_fma_f64 v[38:39], v[12:13], s[88:89], v[42:43]
	v_fma_f64 v[46:47], v[97:98], s[70:71], v[44:45]
	v_fma_f64 v[44:45], v[97:98], s[70:71], -v[44:45]
	v_fma_f64 v[22:23], v[12:13], s[68:69], v[26:27]
	v_fma_f64 v[26:27], v[12:13], s[14:15], v[26:27]
	;; [unrolled: 1-line block ×3, first 2 shown]
	v_add_f64 v[38:39], v[38:39], v[74:75]
	v_add_f64 v[74:75], v[46:47], v[76:77]
	v_mul_f64 v[46:47], v[99:100], s[70:71]
	v_add_f64 v[66:67], v[44:45], v[72:73]
	v_add_f64 v[22:23], v[22:23], v[56:57]
	;; [unrolled: 1-line block ×3, first 2 shown]
	v_add_f64 v[76:77], v[6:7], -v[10:11]
	v_add_f64 v[72:73], v[6:7], v[10:11]
	v_add_f64 v[42:43], v[42:43], v[70:71]
	v_add_f64 v[70:71], v[4:5], -v[8:9]
	v_fma_f64 v[44:45], v[12:13], s[22:23], v[46:47]
	v_fma_f64 v[48:49], v[12:13], s[24:25], v[46:47]
	v_add_f64 v[62:63], v[44:45], v[78:79]
	v_mul_f64 v[44:45], v[14:15], s[16:17]
	v_mul_f64 v[14:15], v[14:15], s[12:13]
	v_add_f64 v[68:69], v[48:49], v[80:81]
	v_mul_f64 v[78:79], v[76:77], s[92:93]
	v_mul_f64 v[80:81], v[72:73], s[2:3]
	v_fma_f64 v[46:47], v[97:98], s[10:11], v[44:45]
	v_fma_f64 v[44:45], v[97:98], s[10:11], -v[44:45]
	v_add_f64 v[58:59], v[46:47], v[84:85]
	v_mul_f64 v[46:47], v[99:100], s[10:11]
	v_add_f64 v[56:57], v[44:45], v[82:83]
	v_fma_f64 v[82:83], v[70:71], s[18:19], v[80:81]
	v_fma_f64 v[44:45], v[12:13], s[16:17], v[46:47]
	;; [unrolled: 1-line block ×3, first 2 shown]
	v_add_f64 v[22:23], v[82:83], v[22:23]
	v_add_f64 v[54:55], v[44:45], v[87:88]
	v_fma_f64 v[44:45], v[97:98], vcc, v[14:15]
	v_add_f64 v[60:61], v[48:49], v[89:90]
	v_add_f64 v[48:49], v[4:5], v[8:9]
	v_mul_f64 v[4:5], v[76:77], s[22:23]
	v_fma_f64 v[14:15], v[97:98], vcc, -v[14:15]
	v_add_f64 v[52:53], v[44:45], v[91:92]
	v_mul_f64 v[44:45], v[99:100], vcc
	v_fma_f64 v[6:7], v[48:49], s[70:71], v[4:5]
	v_fma_f64 v[4:5], v[48:49], s[70:71], -v[4:5]
	v_fma_f64 v[46:47], v[12:13], s[0:1], v[44:45]
	v_fma_f64 v[12:13], v[12:13], s[12:13], v[44:45]
	v_add_f64 v[8:9], v[6:7], v[18:19]
	v_add_f64 v[4:5], v[4:5], v[16:17]
	v_mul_f64 v[16:17], v[76:77], s[88:89]
	v_mul_f64 v[6:7], v[72:73], s[70:71]
	;; [unrolled: 1-line block ×3, first 2 shown]
	v_add_f64 v[50:51], v[46:47], v[93:94]
	v_add_f64 v[44:45], v[12:13], v[20:21]
	v_fma_f64 v[20:21], v[48:49], s[2:3], v[78:79]
	v_fma_f64 v[78:79], v[48:49], s[2:3], -v[78:79]
	v_add_f64 v[46:47], v[14:15], v[95:96]
	v_fma_f64 v[12:13], v[48:49], s[4:5], v[16:17]
	v_fma_f64 v[16:17], v[48:49], s[4:5], -v[16:17]
	v_fma_f64 v[10:11], v[70:71], s[24:25], v[6:7]
	v_fma_f64 v[14:15], v[70:71], s[20:21], v[18:19]
	;; [unrolled: 1-line block ×4, first 2 shown]
	v_readlane_b32 s2, v136, 0
	v_readlane_b32 s3, v136, 1
	v_add_f64 v[20:21], v[20:21], v[113:114]
	v_add_f64 v[24:25], v[78:79], v[24:25]
	v_fma_f64 v[78:79], v[70:71], s[92:93], v[80:81]
	v_add_f64 v[12:13], v[12:13], v[105:106]
	v_add_f64 v[16:17], v[16:17], v[109:110]
	;; [unrolled: 1-line block ×7, first 2 shown]
	v_mul_f64 v[78:79], v[76:77], s[16:17]
	v_fma_f64 v[80:81], v[48:49], s[10:11], v[78:79]
	v_fma_f64 v[78:79], v[48:49], s[10:11], -v[78:79]
	v_add_f64 v[28:29], v[80:81], v[28:29]
	v_mul_f64 v[80:81], v[72:73], s[10:11]
	v_add_f64 v[32:33], v[78:79], v[32:33]
	v_fma_f64 v[78:79], v[70:71], s[16:17], v[80:81]
	v_fma_f64 v[82:83], v[70:71], s[34:35], v[80:81]
	v_add_f64 v[34:35], v[78:79], v[34:35]
	v_mul_f64 v[78:79], v[76:77], s[8:9]
	v_add_f64 v[30:31], v[82:83], v[30:31]
	v_fma_f64 v[80:81], v[48:49], s[6:7], v[78:79]
	v_fma_f64 v[78:79], v[48:49], s[6:7], -v[78:79]
	v_add_f64 v[36:37], v[80:81], v[36:37]
	v_mul_f64 v[80:81], v[72:73], s[6:7]
	v_add_f64 v[40:41], v[78:79], v[40:41]
	v_readlane_b32 s4, v136, 2
	v_readlane_b32 s5, v136, 3
	;; [unrolled: 1-line block ×4, first 2 shown]
	v_fma_f64 v[82:83], v[70:71], s[98:99], v[80:81]
	v_fma_f64 v[78:79], v[70:71], s[8:9], v[80:81]
	v_add_f64 v[38:39], v[82:83], v[38:39]
	v_mul_f64 v[82:83], v[76:77], s[96:97]
	v_add_f64 v[42:43], v[78:79], v[42:43]
	v_fma_f64 v[78:79], v[48:49], s[94:95], v[82:83]
	v_add_f64 v[78:79], v[78:79], v[74:75]
	v_mul_f64 v[74:75], v[72:73], s[94:95]
	v_fma_f64 v[80:81], v[70:71], s[72:73], v[74:75]
	v_add_f64 v[80:81], v[80:81], v[68:69]
	v_fma_f64 v[68:69], v[48:49], s[94:95], -v[82:83]
	v_add_f64 v[66:67], v[68:69], v[66:67]
	v_fma_f64 v[68:69], v[70:71], s[96:97], v[74:75]
	v_add_f64 v[68:69], v[68:69], v[62:63]
	v_mul_f64 v[62:63], v[76:77], s[12:13]
	v_fma_f64 v[74:75], v[48:49], vcc, v[62:63]
	v_fma_f64 v[62:63], v[48:49], vcc, -v[62:63]
	v_add_f64 v[58:59], v[74:75], v[58:59]
	v_mul_f64 v[74:75], v[72:73], vcc
	v_fma_f64 v[82:83], v[70:71], s[0:1], v[74:75]
	s_mov_b32 s0, 0x1e1e1e1e
	s_mov_b32 s1, 0x3fae1e1e
	v_add_f64 v[60:61], v[82:83], v[60:61]
	v_add_f64 v[82:83], v[62:63], v[56:57]
	v_fma_f64 v[56:57], v[70:71], s[12:13], v[74:75]
	v_mul_f64 v[62:63], v[72:73], s[90:91]
	v_add_f64 v[84:85], v[56:57], v[54:55]
	v_mul_f64 v[56:57], v[76:77], s[68:69]
	v_fma_f64 v[54:55], v[48:49], s[90:91], v[56:57]
	v_fma_f64 v[48:49], v[48:49], s[90:91], -v[56:57]
	v_add_f64 v[52:53], v[54:55], v[52:53]
	v_fma_f64 v[54:55], v[70:71], s[14:15], v[62:63]
	v_add_f64 v[46:47], v[48:49], v[46:47]
	v_fma_f64 v[48:49], v[70:71], s[68:69], v[62:63]
	v_readlane_b32 s8, v136, 6
	v_readlane_b32 s10, v136, 8
	;; [unrolled: 1-line block ×16, first 2 shown]
	v_add_f64 v[54:55], v[54:55], v[50:51]
	v_add_f64 v[48:49], v[48:49], v[44:45]
	ds_write_b128 v86, v[0:3]
	ds_write_b128 v86, v[8:11] offset:16
	ds_write_b128 v86, v[12:15] offset:32
	;; [unrolled: 1-line block ×16, first 2 shown]
	s_waitcnt lgkmcnt(0)
	s_barrier
	buffer_gl0_inv
	ds_read_b128 v[0:3], v86
	ds_read_b128 v[4:7], v86 offset:16
	ds_read_b128 v[8:11], v86 offset:32
	;; [unrolled: 1-line block ×3, first 2 shown]
	s_waitcnt lgkmcnt(3)
	v_mul_f64 v[16:17], s[54:55], v[2:3]
	v_fma_f64 v[16:17], s[52:53], v[0:1], v[16:17]
	v_mul_f64 v[0:1], s[54:55], v[0:1]
	v_mul_f64 v[16:17], v[16:17], s[0:1]
	v_fma_f64 v[0:1], s[52:53], v[2:3], -v[0:1]
	s_waitcnt lgkmcnt(2)
	v_mul_f64 v[2:3], s[58:59], v[6:7]
	v_mul_f64 v[18:19], v[0:1], s[0:1]
	v_fma_f64 v[2:3], s[56:57], v[4:5], v[2:3]
	v_mul_f64 v[4:5], s[58:59], v[4:5]
	v_lshlrev_b64 v[0:1], 4, v[64:65]
	v_add_co_u32 v0, vcc_lo, s2, v0
	v_add_co_ci_u32_e32 v1, vcc_lo, s3, v1, vcc_lo
	s_lshl_b64 s[2:3], s[4:5], 4
	global_store_dwordx4 v[0:1], v[16:19], off
	v_mul_f64 v[2:3], v[2:3], s[0:1]
	v_fma_f64 v[4:5], s[56:57], v[6:7], -v[4:5]
	v_add_co_u32 v6, vcc_lo, v0, s2
	v_add_co_ci_u32_e32 v7, vcc_lo, s3, v1, vcc_lo
	s_lshl_b64 s[2:3], s[4:5], 5
	v_mul_f64 v[4:5], v[4:5], s[0:1]
	global_store_dwordx4 v[6:7], v[2:5], off
	s_waitcnt lgkmcnt(1)
	v_mul_f64 v[2:3], s[62:63], v[10:11]
	v_mul_f64 v[4:5], s[62:63], v[8:9]
	v_add_co_u32 v6, vcc_lo, v0, s2
	v_add_co_ci_u32_e32 v7, vcc_lo, s3, v1, vcc_lo
	s_lshl_b64 s[2:3], s[4:5], 6
	v_fma_f64 v[2:3], s[60:61], v[8:9], v[2:3]
	v_fma_f64 v[4:5], s[60:61], v[10:11], -v[4:5]
	v_mul_f64 v[2:3], v[2:3], s[0:1]
	v_mul_f64 v[4:5], v[4:5], s[0:1]
	global_store_dwordx4 v[6:7], v[2:5], off
	s_waitcnt lgkmcnt(0)
	v_mul_f64 v[2:3], s[66:67], v[14:15]
	v_mul_f64 v[4:5], s[66:67], v[12:13]
	v_mad_u64_u32 v[6:7], null, s4, 48, v[0:1]
	v_mad_u64_u32 v[7:8], null, s5, 48, v[7:8]
	v_fma_f64 v[2:3], s[64:65], v[12:13], v[2:3]
	v_fma_f64 v[4:5], s[64:65], v[14:15], -v[4:5]
	v_mul_f64 v[2:3], v[2:3], s[0:1]
	v_mul_f64 v[4:5], v[4:5], s[0:1]
	global_store_dwordx4 v[6:7], v[2:5], off
	ds_read_b128 v[2:5], v86 offset:64
	s_waitcnt lgkmcnt(0)
	v_mul_f64 v[6:7], s[38:39], v[4:5]
	v_fma_f64 v[6:7], s[36:37], v[2:3], v[6:7]
	v_mul_f64 v[2:3], s[38:39], v[2:3]
	v_mul_f64 v[6:7], v[6:7], s[0:1]
	v_fma_f64 v[2:3], s[36:37], v[4:5], -v[2:3]
	v_mul_f64 v[8:9], v[2:3], s[0:1]
	v_add_co_u32 v2, vcc_lo, v0, s2
	v_add_co_ci_u32_e32 v3, vcc_lo, s3, v1, vcc_lo
	s_lshl_b64 s[2:3], s[4:5], 7
	global_store_dwordx4 v[2:3], v[6:9], off
	ds_read_b128 v[2:5], v86 offset:80
	s_waitcnt lgkmcnt(0)
	v_mul_f64 v[6:7], s[42:43], v[4:5]
	v_fma_f64 v[6:7], s[40:41], v[2:3], v[6:7]
	v_mul_f64 v[2:3], s[42:43], v[2:3]
	v_mul_f64 v[6:7], v[6:7], s[0:1]
	v_fma_f64 v[2:3], s[40:41], v[4:5], -v[2:3]
	v_mul_f64 v[8:9], v[2:3], s[0:1]
	v_mad_u64_u32 v[2:3], null, 0x50, s4, v[0:1]
	v_mad_u64_u32 v[3:4], null, 0x50, s5, v[3:4]
	global_store_dwordx4 v[2:3], v[6:9], off
	ds_read_b128 v[2:5], v86 offset:96
	s_waitcnt lgkmcnt(0)
	v_mul_f64 v[6:7], s[46:47], v[4:5]
	v_fma_f64 v[6:7], s[44:45], v[2:3], v[6:7]
	v_mul_f64 v[2:3], s[46:47], v[2:3]
	v_mul_f64 v[6:7], v[6:7], s[0:1]
	v_fma_f64 v[2:3], s[44:45], v[4:5], -v[2:3]
	v_mul_f64 v[8:9], v[2:3], s[0:1]
	v_mad_u64_u32 v[2:3], null, 0x60, s4, v[0:1]
	v_mad_u64_u32 v[3:4], null, 0x60, s5, v[3:4]
	global_store_dwordx4 v[2:3], v[6:9], off
	ds_read_b128 v[2:5], v86 offset:112
	s_waitcnt lgkmcnt(0)
	v_mul_f64 v[6:7], s[50:51], v[4:5]
	v_fma_f64 v[6:7], s[48:49], v[2:3], v[6:7]
	v_mul_f64 v[2:3], s[50:51], v[2:3]
	v_mul_f64 v[6:7], v[6:7], s[0:1]
	v_fma_f64 v[2:3], s[48:49], v[4:5], -v[2:3]
	v_readlane_b32 s36, v135, 6
	v_readlane_b32 s37, v135, 7
	;; [unrolled: 1-line block ×16, first 2 shown]
	v_mul_f64 v[8:9], v[2:3], s[0:1]
	v_mad_u64_u32 v[2:3], null, 0x70, s4, v[0:1]
	v_mad_u64_u32 v[3:4], null, 0x70, s5, v[3:4]
	global_store_dwordx4 v[2:3], v[6:9], off
	ds_read_b128 v[2:5], v86 offset:128
	s_waitcnt lgkmcnt(0)
	v_mul_f64 v[6:7], s[10:11], v[4:5]
	v_fma_f64 v[6:7], s[8:9], v[2:3], v[6:7]
	v_mul_f64 v[2:3], s[10:11], v[2:3]
	v_mul_f64 v[6:7], v[6:7], s[0:1]
	v_fma_f64 v[2:3], s[8:9], v[4:5], -v[2:3]
	s_mov_b64 s[8:9], s[12:13]
	s_mov_b64 s[10:11], s[14:15]
	;; [unrolled: 1-line block ×7, first 2 shown]
	v_mul_f64 v[8:9], v[2:3], s[0:1]
	v_add_co_u32 v2, vcc_lo, v0, s2
	v_add_co_ci_u32_e32 v3, vcc_lo, s3, v1, vcc_lo
	global_store_dwordx4 v[2:3], v[6:9], off
	ds_read_b128 v[2:5], v86 offset:144
	s_waitcnt lgkmcnt(0)
	v_mul_f64 v[6:7], s[10:11], v[4:5]
	v_fma_f64 v[6:7], s[8:9], v[2:3], v[6:7]
	v_mul_f64 v[2:3], s[10:11], v[2:3]
	v_mul_f64 v[6:7], v[6:7], s[0:1]
	v_fma_f64 v[2:3], s[8:9], v[4:5], -v[2:3]
	v_mul_f64 v[8:9], v[2:3], s[0:1]
	v_mad_u64_u32 v[2:3], null, 0x90, s20, v[0:1]
	v_mad_u64_u32 v[3:4], null, 0x90, s21, v[3:4]
	global_store_dwordx4 v[2:3], v[6:9], off
	ds_read_b128 v[2:5], v86 offset:160
	s_waitcnt lgkmcnt(0)
	v_mul_f64 v[6:7], s[14:15], v[4:5]
	v_fma_f64 v[6:7], s[12:13], v[2:3], v[6:7]
	v_mul_f64 v[2:3], s[14:15], v[2:3]
	v_mul_f64 v[6:7], v[6:7], s[0:1]
	v_fma_f64 v[2:3], s[12:13], v[4:5], -v[2:3]
	v_mul_f64 v[8:9], v[2:3], s[0:1]
	v_mad_u64_u32 v[2:3], null, 0xa0, s20, v[0:1]
	v_mad_u64_u32 v[3:4], null, 0xa0, s21, v[3:4]
	global_store_dwordx4 v[2:3], v[6:9], off
	ds_read_b128 v[2:5], v86 offset:176
	s_waitcnt lgkmcnt(0)
	v_mul_f64 v[6:7], s[18:19], v[4:5]
	v_fma_f64 v[6:7], s[16:17], v[2:3], v[6:7]
	v_mul_f64 v[2:3], s[18:19], v[2:3]
	v_mul_f64 v[6:7], v[6:7], s[0:1]
	v_fma_f64 v[2:3], s[16:17], v[4:5], -v[2:3]
	v_readlane_b32 s4, v136, 22
	v_readlane_b32 s6, v136, 24
	;; [unrolled: 1-line block ×16, first 2 shown]
	v_mul_f64 v[8:9], v[2:3], s[0:1]
	v_mad_u64_u32 v[2:3], null, 0xb0, s20, v[0:1]
	v_mad_u64_u32 v[3:4], null, 0xb0, s21, v[3:4]
	global_store_dwordx4 v[2:3], v[6:9], off
	ds_read_b128 v[2:5], v86 offset:192
	s_waitcnt lgkmcnt(0)
	v_mul_f64 v[6:7], s[6:7], v[4:5]
	v_fma_f64 v[6:7], s[4:5], v[2:3], v[6:7]
	v_mul_f64 v[2:3], s[6:7], v[2:3]
	v_mul_f64 v[6:7], v[6:7], s[0:1]
	v_fma_f64 v[2:3], s[4:5], v[4:5], -v[2:3]
	s_mov_b64 s[4:5], s[8:9]
	s_mov_b64 s[6:7], s[10:11]
	;; [unrolled: 1-line block ×7, first 2 shown]
	v_mul_f64 v[8:9], v[2:3], s[0:1]
	v_mad_u64_u32 v[2:3], null, 0xc0, s16, v[0:1]
	v_mad_u64_u32 v[3:4], null, 0xc0, s17, v[3:4]
	global_store_dwordx4 v[2:3], v[6:9], off
	ds_read_b128 v[2:5], v86 offset:208
	s_waitcnt lgkmcnt(0)
	v_mul_f64 v[6:7], s[6:7], v[4:5]
	v_fma_f64 v[6:7], s[4:5], v[2:3], v[6:7]
	v_mul_f64 v[2:3], s[6:7], v[2:3]
	v_mul_f64 v[6:7], v[6:7], s[0:1]
	v_fma_f64 v[2:3], s[4:5], v[4:5], -v[2:3]
	s_mov_b64 s[4:5], s[36:37]
	s_mov_b64 s[6:7], s[38:39]
	v_mul_f64 v[8:9], v[2:3], s[0:1]
	v_mad_u64_u32 v[2:3], null, 0xd0, s16, v[0:1]
	v_mad_u64_u32 v[3:4], null, 0xd0, s17, v[3:4]
	global_store_dwordx4 v[2:3], v[6:9], off
	ds_read_b128 v[2:5], v86 offset:224
	s_waitcnt lgkmcnt(0)
	v_mul_f64 v[6:7], s[10:11], v[4:5]
	v_fma_f64 v[6:7], s[8:9], v[2:3], v[6:7]
	v_mul_f64 v[2:3], s[10:11], v[2:3]
	v_mul_f64 v[6:7], v[6:7], s[0:1]
	v_fma_f64 v[2:3], s[8:9], v[4:5], -v[2:3]
	v_mul_f64 v[8:9], v[2:3], s[0:1]
	v_mad_u64_u32 v[2:3], null, 0xe0, s16, v[0:1]
	v_mad_u64_u32 v[3:4], null, 0xe0, s17, v[3:4]
	global_store_dwordx4 v[2:3], v[6:9], off
	ds_read_b128 v[2:5], v86 offset:240
	s_waitcnt lgkmcnt(0)
	v_mul_f64 v[6:7], s[14:15], v[4:5]
	v_fma_f64 v[6:7], s[12:13], v[2:3], v[6:7]
	v_mul_f64 v[2:3], s[14:15], v[2:3]
	v_mul_f64 v[6:7], v[6:7], s[0:1]
	v_fma_f64 v[2:3], s[12:13], v[4:5], -v[2:3]
	;; [unrolled: 11-line block ×3, first 2 shown]
	v_mul_f64 v[8:9], v[2:3], s[0:1]
	s_lshl_b64 s[0:1], s[20:21], 8
	v_add_co_u32 v0, vcc_lo, v0, s0
	v_add_co_ci_u32_e32 v1, vcc_lo, s1, v1, vcc_lo
	global_store_dwordx4 v[0:1], v[6:9], off
.LBB0_2:
	s_endpgm
	.section	.rodata,"a",@progbits
	.p2align	6, 0x0
	.amdhsa_kernel bluestein_single_back_len17_dim1_dp_op_CI_CI
		.amdhsa_group_segment_fixed_size 32640
		.amdhsa_private_segment_fixed_size 0
		.amdhsa_kernarg_size 104
		.amdhsa_user_sgpr_count 6
		.amdhsa_user_sgpr_private_segment_buffer 1
		.amdhsa_user_sgpr_dispatch_ptr 0
		.amdhsa_user_sgpr_queue_ptr 0
		.amdhsa_user_sgpr_kernarg_segment_ptr 1
		.amdhsa_user_sgpr_dispatch_id 0
		.amdhsa_user_sgpr_flat_scratch_init 0
		.amdhsa_user_sgpr_private_segment_size 0
		.amdhsa_wavefront_size32 1
		.amdhsa_uses_dynamic_stack 0
		.amdhsa_system_sgpr_private_segment_wavefront_offset 0
		.amdhsa_system_sgpr_workgroup_id_x 1
		.amdhsa_system_sgpr_workgroup_id_y 0
		.amdhsa_system_sgpr_workgroup_id_z 0
		.amdhsa_system_sgpr_workgroup_info 0
		.amdhsa_system_vgpr_workitem_id 0
		.amdhsa_next_free_vgpr 137
		.amdhsa_next_free_sgpr 100
		.amdhsa_reserve_vcc 1
		.amdhsa_reserve_flat_scratch 0
		.amdhsa_float_round_mode_32 0
		.amdhsa_float_round_mode_16_64 0
		.amdhsa_float_denorm_mode_32 3
		.amdhsa_float_denorm_mode_16_64 3
		.amdhsa_dx10_clamp 1
		.amdhsa_ieee_mode 1
		.amdhsa_fp16_overflow 0
		.amdhsa_workgroup_processor_mode 1
		.amdhsa_memory_ordered 1
		.amdhsa_forward_progress 0
		.amdhsa_shared_vgpr_count 0
		.amdhsa_exception_fp_ieee_invalid_op 0
		.amdhsa_exception_fp_denorm_src 0
		.amdhsa_exception_fp_ieee_div_zero 0
		.amdhsa_exception_fp_ieee_overflow 0
		.amdhsa_exception_fp_ieee_underflow 0
		.amdhsa_exception_fp_ieee_inexact 0
		.amdhsa_exception_int_div_zero 0
	.end_amdhsa_kernel
	.text
.Lfunc_end0:
	.size	bluestein_single_back_len17_dim1_dp_op_CI_CI, .Lfunc_end0-bluestein_single_back_len17_dim1_dp_op_CI_CI
                                        ; -- End function
	.section	.AMDGPU.csdata,"",@progbits
; Kernel info:
; codeLenInByte = 17324
; NumSgprs: 102
; NumVgprs: 137
; ScratchSize: 0
; MemoryBound: 0
; FloatMode: 240
; IeeeMode: 1
; LDSByteSize: 32640 bytes/workgroup (compile time only)
; SGPRBlocks: 12
; VGPRBlocks: 17
; NumSGPRsForWavesPerEU: 102
; NumVGPRsForWavesPerEU: 137
; Occupancy: 4
; WaveLimiterHint : 1
; COMPUTE_PGM_RSRC2:SCRATCH_EN: 0
; COMPUTE_PGM_RSRC2:USER_SGPR: 6
; COMPUTE_PGM_RSRC2:TRAP_HANDLER: 0
; COMPUTE_PGM_RSRC2:TGID_X_EN: 1
; COMPUTE_PGM_RSRC2:TGID_Y_EN: 0
; COMPUTE_PGM_RSRC2:TGID_Z_EN: 0
; COMPUTE_PGM_RSRC2:TIDIG_COMP_CNT: 0
	.text
	.p2alignl 6, 3214868480
	.fill 48, 4, 3214868480
	.type	__hip_cuid_b8e760f4900eaa26,@object ; @__hip_cuid_b8e760f4900eaa26
	.section	.bss,"aw",@nobits
	.globl	__hip_cuid_b8e760f4900eaa26
__hip_cuid_b8e760f4900eaa26:
	.byte	0                               ; 0x0
	.size	__hip_cuid_b8e760f4900eaa26, 1

	.ident	"AMD clang version 19.0.0git (https://github.com/RadeonOpenCompute/llvm-project roc-6.4.0 25133 c7fe45cf4b819c5991fe208aaa96edf142730f1d)"
	.section	".note.GNU-stack","",@progbits
	.addrsig
	.addrsig_sym __hip_cuid_b8e760f4900eaa26
	.amdgpu_metadata
---
amdhsa.kernels:
  - .args:
      - .actual_access:  read_only
        .address_space:  global
        .offset:         0
        .size:           8
        .value_kind:     global_buffer
      - .actual_access:  read_only
        .address_space:  global
        .offset:         8
        .size:           8
        .value_kind:     global_buffer
      - .actual_access:  read_only
        .address_space:  global
        .offset:         16
        .size:           8
        .value_kind:     global_buffer
      - .actual_access:  read_only
        .address_space:  global
        .offset:         24
        .size:           8
        .value_kind:     global_buffer
      - .actual_access:  read_only
        .address_space:  global
        .offset:         32
        .size:           8
        .value_kind:     global_buffer
      - .offset:         40
        .size:           8
        .value_kind:     by_value
      - .address_space:  global
        .offset:         48
        .size:           8
        .value_kind:     global_buffer
      - .address_space:  global
        .offset:         56
        .size:           8
        .value_kind:     global_buffer
      - .address_space:  global
        .offset:         64
        .size:           8
        .value_kind:     global_buffer
      - .address_space:  global
        .offset:         72
        .size:           8
        .value_kind:     global_buffer
      - .offset:         80
        .size:           4
        .value_kind:     by_value
      - .address_space:  global
        .offset:         88
        .size:           8
        .value_kind:     global_buffer
      - .address_space:  global
        .offset:         96
        .size:           8
        .value_kind:     global_buffer
    .group_segment_fixed_size: 32640
    .kernarg_segment_align: 8
    .kernarg_segment_size: 104
    .language:       OpenCL C
    .language_version:
      - 2
      - 0
    .max_flat_workgroup_size: 120
    .name:           bluestein_single_back_len17_dim1_dp_op_CI_CI
    .private_segment_fixed_size: 0
    .sgpr_count:     102
    .sgpr_spill_count: 54
    .symbol:         bluestein_single_back_len17_dim1_dp_op_CI_CI.kd
    .uniform_work_group_size: 1
    .uses_dynamic_stack: false
    .vgpr_count:     137
    .vgpr_spill_count: 0
    .wavefront_size: 32
    .workgroup_processor_mode: 1
amdhsa.target:   amdgcn-amd-amdhsa--gfx1030
amdhsa.version:
  - 1
  - 2
...

	.end_amdgpu_metadata
